;; amdgpu-corpus repo=ROCm/rocFFT kind=compiled arch=gfx906 opt=O3
	.text
	.amdgcn_target "amdgcn-amd-amdhsa--gfx906"
	.amdhsa_code_object_version 6
	.protected	fft_rtc_back_len1960_factors_4_7_2_7_5_wgs_56_tpt_56_halfLds_sp_ip_CI_unitstride_sbrr_R2C_dirReg ; -- Begin function fft_rtc_back_len1960_factors_4_7_2_7_5_wgs_56_tpt_56_halfLds_sp_ip_CI_unitstride_sbrr_R2C_dirReg
	.globl	fft_rtc_back_len1960_factors_4_7_2_7_5_wgs_56_tpt_56_halfLds_sp_ip_CI_unitstride_sbrr_R2C_dirReg
	.p2align	8
	.type	fft_rtc_back_len1960_factors_4_7_2_7_5_wgs_56_tpt_56_halfLds_sp_ip_CI_unitstride_sbrr_R2C_dirReg,@function
fft_rtc_back_len1960_factors_4_7_2_7_5_wgs_56_tpt_56_halfLds_sp_ip_CI_unitstride_sbrr_R2C_dirReg: ; @fft_rtc_back_len1960_factors_4_7_2_7_5_wgs_56_tpt_56_halfLds_sp_ip_CI_unitstride_sbrr_R2C_dirReg
; %bb.0:
	s_load_dwordx2 s[12:13], s[4:5], 0x50
	s_load_dwordx4 s[8:11], s[4:5], 0x0
	s_load_dwordx2 s[2:3], s[4:5], 0x18
	v_mul_u32_u24_e32 v1, 0x493, v0
	v_add_u32_sdwa v5, s6, v1 dst_sel:DWORD dst_unused:UNUSED_PAD src0_sel:DWORD src1_sel:WORD_1
	v_mov_b32_e32 v3, 0
	s_waitcnt lgkmcnt(0)
	v_cmp_lt_u64_e64 s[0:1], s[10:11], 2
	v_mov_b32_e32 v1, 0
	v_mov_b32_e32 v6, v3
	s_and_b64 vcc, exec, s[0:1]
	v_mov_b32_e32 v2, 0
	s_cbranch_vccnz .LBB0_8
; %bb.1:
	s_load_dwordx2 s[0:1], s[4:5], 0x10
	s_add_u32 s6, s2, 8
	s_addc_u32 s7, s3, 0
	v_mov_b32_e32 v1, 0
	v_mov_b32_e32 v2, 0
	s_waitcnt lgkmcnt(0)
	s_add_u32 s14, s0, 8
	s_addc_u32 s15, s1, 0
	s_mov_b64 s[16:17], 1
.LBB0_2:                                ; =>This Inner Loop Header: Depth=1
	s_load_dwordx2 s[18:19], s[14:15], 0x0
                                        ; implicit-def: $vgpr7_vgpr8
	s_waitcnt lgkmcnt(0)
	v_or_b32_e32 v4, s19, v6
	v_cmp_ne_u64_e32 vcc, 0, v[3:4]
	s_and_saveexec_b64 s[0:1], vcc
	s_xor_b64 s[20:21], exec, s[0:1]
	s_cbranch_execz .LBB0_4
; %bb.3:                                ;   in Loop: Header=BB0_2 Depth=1
	v_cvt_f32_u32_e32 v4, s18
	v_cvt_f32_u32_e32 v7, s19
	s_sub_u32 s0, 0, s18
	s_subb_u32 s1, 0, s19
	v_mac_f32_e32 v4, 0x4f800000, v7
	v_rcp_f32_e32 v4, v4
	v_mul_f32_e32 v4, 0x5f7ffffc, v4
	v_mul_f32_e32 v7, 0x2f800000, v4
	v_trunc_f32_e32 v7, v7
	v_mac_f32_e32 v4, 0xcf800000, v7
	v_cvt_u32_f32_e32 v7, v7
	v_cvt_u32_f32_e32 v4, v4
	v_mul_lo_u32 v8, s0, v7
	v_mul_hi_u32 v9, s0, v4
	v_mul_lo_u32 v11, s1, v4
	v_mul_lo_u32 v10, s0, v4
	v_add_u32_e32 v8, v9, v8
	v_add_u32_e32 v8, v8, v11
	v_mul_hi_u32 v9, v4, v10
	v_mul_lo_u32 v11, v4, v8
	v_mul_hi_u32 v13, v4, v8
	v_mul_hi_u32 v12, v7, v10
	v_mul_lo_u32 v10, v7, v10
	v_mul_hi_u32 v14, v7, v8
	v_add_co_u32_e32 v9, vcc, v9, v11
	v_addc_co_u32_e32 v11, vcc, 0, v13, vcc
	v_mul_lo_u32 v8, v7, v8
	v_add_co_u32_e32 v9, vcc, v9, v10
	v_addc_co_u32_e32 v9, vcc, v11, v12, vcc
	v_addc_co_u32_e32 v10, vcc, 0, v14, vcc
	v_add_co_u32_e32 v8, vcc, v9, v8
	v_addc_co_u32_e32 v9, vcc, 0, v10, vcc
	v_add_co_u32_e32 v4, vcc, v4, v8
	v_addc_co_u32_e32 v7, vcc, v7, v9, vcc
	v_mul_lo_u32 v8, s0, v7
	v_mul_hi_u32 v9, s0, v4
	v_mul_lo_u32 v10, s1, v4
	v_mul_lo_u32 v11, s0, v4
	v_add_u32_e32 v8, v9, v8
	v_add_u32_e32 v8, v8, v10
	v_mul_lo_u32 v12, v4, v8
	v_mul_hi_u32 v13, v4, v11
	v_mul_hi_u32 v14, v4, v8
	;; [unrolled: 1-line block ×3, first 2 shown]
	v_mul_lo_u32 v11, v7, v11
	v_mul_hi_u32 v9, v7, v8
	v_add_co_u32_e32 v12, vcc, v13, v12
	v_addc_co_u32_e32 v13, vcc, 0, v14, vcc
	v_mul_lo_u32 v8, v7, v8
	v_add_co_u32_e32 v11, vcc, v12, v11
	v_addc_co_u32_e32 v10, vcc, v13, v10, vcc
	v_addc_co_u32_e32 v9, vcc, 0, v9, vcc
	v_add_co_u32_e32 v8, vcc, v10, v8
	v_addc_co_u32_e32 v9, vcc, 0, v9, vcc
	v_add_co_u32_e32 v4, vcc, v4, v8
	v_addc_co_u32_e32 v9, vcc, v7, v9, vcc
	v_mad_u64_u32 v[7:8], s[0:1], v5, v9, 0
	v_mul_hi_u32 v10, v5, v4
	v_add_co_u32_e32 v11, vcc, v10, v7
	v_addc_co_u32_e32 v12, vcc, 0, v8, vcc
	v_mad_u64_u32 v[7:8], s[0:1], v6, v4, 0
	v_mad_u64_u32 v[9:10], s[0:1], v6, v9, 0
	v_add_co_u32_e32 v4, vcc, v11, v7
	v_addc_co_u32_e32 v4, vcc, v12, v8, vcc
	v_addc_co_u32_e32 v7, vcc, 0, v10, vcc
	v_add_co_u32_e32 v4, vcc, v4, v9
	v_addc_co_u32_e32 v9, vcc, 0, v7, vcc
	v_mul_lo_u32 v10, s19, v4
	v_mul_lo_u32 v11, s18, v9
	v_mad_u64_u32 v[7:8], s[0:1], s18, v4, 0
	v_add3_u32 v8, v8, v11, v10
	v_sub_u32_e32 v10, v6, v8
	v_mov_b32_e32 v11, s19
	v_sub_co_u32_e32 v7, vcc, v5, v7
	v_subb_co_u32_e64 v10, s[0:1], v10, v11, vcc
	v_subrev_co_u32_e64 v11, s[0:1], s18, v7
	v_subbrev_co_u32_e64 v10, s[0:1], 0, v10, s[0:1]
	v_cmp_le_u32_e64 s[0:1], s19, v10
	v_cndmask_b32_e64 v12, 0, -1, s[0:1]
	v_cmp_le_u32_e64 s[0:1], s18, v11
	v_cndmask_b32_e64 v11, 0, -1, s[0:1]
	v_cmp_eq_u32_e64 s[0:1], s19, v10
	v_cndmask_b32_e64 v10, v12, v11, s[0:1]
	v_add_co_u32_e64 v11, s[0:1], 2, v4
	v_addc_co_u32_e64 v12, s[0:1], 0, v9, s[0:1]
	v_add_co_u32_e64 v13, s[0:1], 1, v4
	v_addc_co_u32_e64 v14, s[0:1], 0, v9, s[0:1]
	v_subb_co_u32_e32 v8, vcc, v6, v8, vcc
	v_cmp_ne_u32_e64 s[0:1], 0, v10
	v_cmp_le_u32_e32 vcc, s19, v8
	v_cndmask_b32_e64 v10, v14, v12, s[0:1]
	v_cndmask_b32_e64 v12, 0, -1, vcc
	v_cmp_le_u32_e32 vcc, s18, v7
	v_cndmask_b32_e64 v7, 0, -1, vcc
	v_cmp_eq_u32_e32 vcc, s19, v8
	v_cndmask_b32_e32 v7, v12, v7, vcc
	v_cmp_ne_u32_e32 vcc, 0, v7
	v_cndmask_b32_e64 v7, v13, v11, s[0:1]
	v_cndmask_b32_e32 v8, v9, v10, vcc
	v_cndmask_b32_e32 v7, v4, v7, vcc
.LBB0_4:                                ;   in Loop: Header=BB0_2 Depth=1
	s_andn2_saveexec_b64 s[0:1], s[20:21]
	s_cbranch_execz .LBB0_6
; %bb.5:                                ;   in Loop: Header=BB0_2 Depth=1
	v_cvt_f32_u32_e32 v4, s18
	s_sub_i32 s20, 0, s18
	v_rcp_iflag_f32_e32 v4, v4
	v_mul_f32_e32 v4, 0x4f7ffffe, v4
	v_cvt_u32_f32_e32 v4, v4
	v_mul_lo_u32 v7, s20, v4
	v_mul_hi_u32 v7, v4, v7
	v_add_u32_e32 v4, v4, v7
	v_mul_hi_u32 v4, v5, v4
	v_mul_lo_u32 v7, v4, s18
	v_add_u32_e32 v8, 1, v4
	v_sub_u32_e32 v7, v5, v7
	v_subrev_u32_e32 v9, s18, v7
	v_cmp_le_u32_e32 vcc, s18, v7
	v_cndmask_b32_e32 v7, v7, v9, vcc
	v_cndmask_b32_e32 v4, v4, v8, vcc
	v_add_u32_e32 v8, 1, v4
	v_cmp_le_u32_e32 vcc, s18, v7
	v_cndmask_b32_e32 v7, v4, v8, vcc
	v_mov_b32_e32 v8, v3
.LBB0_6:                                ;   in Loop: Header=BB0_2 Depth=1
	s_or_b64 exec, exec, s[0:1]
	v_mul_lo_u32 v4, v8, s18
	v_mul_lo_u32 v11, v7, s19
	v_mad_u64_u32 v[9:10], s[0:1], v7, s18, 0
	s_load_dwordx2 s[0:1], s[6:7], 0x0
	s_add_u32 s16, s16, 1
	v_add3_u32 v4, v10, v11, v4
	v_sub_co_u32_e32 v5, vcc, v5, v9
	v_subb_co_u32_e32 v4, vcc, v6, v4, vcc
	s_waitcnt lgkmcnt(0)
	v_mul_lo_u32 v4, s0, v4
	v_mul_lo_u32 v6, s1, v5
	v_mad_u64_u32 v[1:2], s[0:1], s0, v5, v[1:2]
	s_addc_u32 s17, s17, 0
	s_add_u32 s6, s6, 8
	v_add3_u32 v2, v6, v2, v4
	v_mov_b32_e32 v4, s10
	v_mov_b32_e32 v5, s11
	s_addc_u32 s7, s7, 0
	v_cmp_ge_u64_e32 vcc, s[16:17], v[4:5]
	s_add_u32 s14, s14, 8
	s_addc_u32 s15, s15, 0
	s_cbranch_vccnz .LBB0_9
; %bb.7:                                ;   in Loop: Header=BB0_2 Depth=1
	v_mov_b32_e32 v5, v7
	v_mov_b32_e32 v6, v8
	s_branch .LBB0_2
.LBB0_8:
	v_mov_b32_e32 v8, v6
	v_mov_b32_e32 v7, v5
.LBB0_9:
	s_lshl_b64 s[0:1], s[10:11], 3
	s_add_u32 s0, s2, s0
	s_addc_u32 s1, s3, s1
	s_load_dwordx2 s[2:3], s[0:1], 0x0
	s_load_dwordx2 s[6:7], s[4:5], 0x20
                                        ; implicit-def: $vgpr62
                                        ; implicit-def: $vgpr61
                                        ; implicit-def: $vgpr56
                                        ; implicit-def: $vgpr58
                                        ; implicit-def: $vgpr60
                                        ; implicit-def: $vgpr55
                                        ; implicit-def: $vgpr54
	s_waitcnt lgkmcnt(0)
	v_mad_u64_u32 v[1:2], s[0:1], s2, v7, v[1:2]
	s_mov_b32 s0, 0x4924925
	v_mul_lo_u32 v3, s2, v8
	v_mul_lo_u32 v4, s3, v7
	v_mul_hi_u32 v5, v0, s0
	v_cmp_gt_u64_e64 s[0:1], s[6:7], v[7:8]
	v_cmp_le_u64_e32 vcc, s[6:7], v[7:8]
	v_add3_u32 v2, v4, v2, v3
	v_mul_u32_u24_e32 v3, 56, v5
	v_sub_u32_e32 v48, v0, v3
	v_add_u32_e32 v52, 56, v48
	s_and_saveexec_b64 s[2:3], vcc
	s_xor_b64 s[2:3], exec, s[2:3]
; %bb.10:
	v_add_u32_e32 v52, 56, v48
	v_add_u32_e32 v62, 0x70, v48
	;; [unrolled: 1-line block ×7, first 2 shown]
	v_or_b32_e32 v54, 0x1c0, v48
; %bb.11:
	s_or_saveexec_b64 s[2:3], s[2:3]
	v_lshlrev_b64 v[50:51], 3, v[1:2]
	v_lshl_add_u32 v89, v48, 3, 0
	s_xor_b64 exec, exec, s[2:3]
	s_cbranch_execz .LBB0_13
; %bb.12:
	v_mov_b32_e32 v49, 0
	v_mov_b32_e32 v0, s13
	v_add_co_u32_e32 v73, vcc, s12, v50
	v_addc_co_u32_e32 v74, vcc, v0, v51, vcc
	v_lshlrev_b64 v[0:1], 3, v[48:49]
	s_movk_i32 s4, 0x1000
	v_add_co_u32_e32 v0, vcc, v73, v0
	v_addc_co_u32_e32 v1, vcc, v74, v1, vcc
	v_or_b32_e32 v28, 0x380, v48
	v_mov_b32_e32 v29, v49
	v_add_co_u32_e32 v10, vcc, s4, v0
	v_lshlrev_b64 v[28:29], 3, v[28:29]
	v_addc_co_u32_e32 v11, vcc, 0, v1, vcc
	v_add_co_u32_e32 v28, vcc, v73, v28
	v_addc_co_u32_e32 v29, vcc, v74, v29, vcc
	s_movk_i32 s4, 0x2000
	v_add_co_u32_e32 v32, vcc, s4, v0
	v_addc_co_u32_e32 v33, vcc, 0, v1, vcc
	global_load_dwordx2 v[2:3], v[0:1], off offset:1792
	global_load_dwordx2 v[4:5], v[0:1], off offset:2240
	;; [unrolled: 1-line block ×14, first 2 shown]
	global_load_dwordx2 v[36:37], v[28:29], off
	global_load_dwordx2 v[38:39], v[10:11], off offset:3968
	global_load_dwordx2 v[40:41], v[32:33], off offset:768
	;; [unrolled: 1-line block ×5, first 2 shown]
	global_load_dwordx2 v[53:54], v[0:1], off
	global_load_dwordx2 v[55:56], v[0:1], off offset:448
	global_load_dwordx2 v[57:58], v[0:1], off offset:896
	;; [unrolled: 1-line block ×3, first 2 shown]
	v_or_b32_e32 v10, 0x540, v48
	v_mov_b32_e32 v11, v49
	v_lshlrev_b64 v[10:11], 3, v[10:11]
	s_movk_i32 s4, 0x3000
	v_add_co_u32_e32 v10, vcc, v73, v10
	v_addc_co_u32_e32 v11, vcc, v74, v11, vcc
	v_or_b32_e32 v71, 0x700, v48
	v_mov_b32_e32 v72, v49
	v_add_co_u32_e32 v0, vcc, s4, v0
	v_lshlrev_b64 v[71:72], 3, v[71:72]
	global_load_dwordx2 v[28:29], v[32:33], off offset:3008
	global_load_dwordx2 v[61:62], v[32:33], off offset:3456
	global_load_dwordx2 v[63:64], v[10:11], off
	global_load_dwordx2 v[65:66], v[32:33], off offset:3904
	v_addc_co_u32_e32 v1, vcc, 0, v1, vcc
	global_load_dwordx2 v[10:11], v[0:1], off offset:256
	global_load_dwordx2 v[32:33], v[0:1], off offset:704
	;; [unrolled: 1-line block ×4, first 2 shown]
	v_add_co_u32_e32 v71, vcc, v73, v71
	v_addc_co_u32_e32 v72, vcc, v74, v72, vcc
	global_load_dwordx2 v[73:74], v[0:1], off offset:2496
	global_load_dwordx2 v[75:76], v[71:72], off
	global_load_dwordx2 v[77:78], v[0:1], off offset:2944
	v_add_u32_e32 v0, 0x400, v89
	v_add_u32_e32 v1, 0x800, v89
	s_waitcnt vmcnt(33)
	ds_write2_b64 v0, v[2:3], v[4:5] offset0:96 offset1:152
	s_waitcnt vmcnt(31)
	ds_write2_b64 v1, v[6:7], v[8:9] offset0:80 offset1:136
	;; [unrolled: 2-line block ×3, first 2 shown]
	v_add_u32_e32 v0, 0x1000, v89
	s_waitcnt vmcnt(27)
	ds_write2_b64 v0, v[16:17], v[18:19] offset0:48 offset1:104
	s_waitcnt vmcnt(25)
	ds_write2_b64 v0, v[20:21], v[22:23] offset0:160 offset1:216
	v_add_u32_e32 v0, 0x1800, v89
	s_waitcnt vmcnt(23)
	ds_write2_b64 v0, v[24:25], v[26:27] offset0:16 offset1:72
	s_waitcnt vmcnt(20)
	ds_write2_b64 v0, v[36:37], v[30:31] offset0:128 offset1:184
	v_add_u32_e32 v0, 0x1c00, v89
	s_waitcnt vmcnt(19)
	ds_write2_b64 v0, v[38:39], v[34:35] offset0:112 offset1:168
	v_add_u32_e32 v0, 0x2000, v89
	s_waitcnt vmcnt(17)
	ds_write2_b64 v0, v[40:41], v[42:43] offset0:96 offset1:152
	s_waitcnt vmcnt(13)
	ds_write2_b64 v89, v[53:54], v[55:56] offset1:56
	v_add_u32_e32 v0, 0x2400, v89
	s_waitcnt vmcnt(11)
	ds_write2_b64 v89, v[57:58], v[59:60] offset0:112 offset1:168
	ds_write2_b64 v0, v[44:45], v[46:47] offset0:80 offset1:136
	v_add_u32_e32 v0, 0x2800, v89
	s_waitcnt vmcnt(8)
	ds_write2_b64 v0, v[63:64], v[28:29] offset0:64 offset1:120
	s_waitcnt vmcnt(7)
	ds_write2_b64 v0, v[61:62], v[65:66] offset0:176 offset1:232
	v_add_u32_e32 v0, 0x3000, v89
	s_waitcnt vmcnt(5)
	ds_write2_b64 v0, v[10:11], v[32:33] offset0:32 offset1:88
	v_add_u32_e32 v62, 0x70, v48
	v_add_u32_e32 v61, 0xa8, v48
	s_waitcnt vmcnt(3)
	ds_write2_b64 v0, v[67:68], v[69:70] offset0:144 offset1:200
	v_add_u32_e32 v56, 0xe0, v48
	v_add_u32_e32 v58, 0x118, v48
	;; [unrolled: 1-line block ×5, first 2 shown]
	v_or_b32_e32 v54, 0x1c0, v48
	s_waitcnt vmcnt(1)
	ds_write2_b64 v0, v[75:76], v[73:74] offset1:56
	s_waitcnt vmcnt(0)
	ds_write_b64 v89, v[77:78] offset:15232
.LBB0_13:
	s_or_b64 exec, exec, s[2:3]
	v_add_u32_e32 v12, 0x800, v89
	s_waitcnt lgkmcnt(0)
	; wave barrier
	s_waitcnt lgkmcnt(0)
	v_add_u32_e32 v11, 0x1c00, v89
	ds_read2_b64 v[13:16], v89 offset1:56
	ds_read2_b64 v[21:24], v11 offset0:84 offset1:140
	v_add_u32_e32 v6, 0x2800, v89
	ds_read2_b64 v[0:3], v12 offset0:192 offset1:234
	ds_read2_b64 v[17:20], v6 offset0:148 offset1:190
	v_lshl_add_u32 v49, v58, 5, 0
	v_cmp_gt_u32_e32 vcc, 42, v48
	s_waitcnt lgkmcnt(2)
	v_sub_f32_e32 v4, v13, v21
	v_sub_f32_e32 v5, v14, v22
	s_waitcnt lgkmcnt(0)
	v_sub_f32_e32 v9, v2, v19
	v_sub_f32_e32 v10, v3, v20
	v_fma_f32 v7, v13, 2.0, -v4
	v_fma_f32 v8, v14, 2.0, -v5
	;; [unrolled: 1-line block ×4, first 2 shown]
	v_sub_f32_e32 v13, v7, v2
	v_sub_f32_e32 v14, v8, v3
	v_add_f32_e32 v87, v4, v10
	v_sub_f32_e32 v88, v5, v9
	v_fma_f32 v45, v7, 2.0, -v13
	v_fma_f32 v46, v8, 2.0, -v14
	;; [unrolled: 1-line block ×4, first 2 shown]
	v_add_u32_e32 v2, 0x400, v89
	v_add_u32_e32 v3, 0x3400, v89
	v_lshl_add_u32 v10, v48, 5, 0
	v_add_u32_e32 v7, 0x1000, v89
	v_add_u32_e32 v8, 0x2c00, v89
	v_add_u32_e32 v9, 0x2000, v89
	v_add_u32_e32 v22, 0x3000, v89
	v_add_u32_e32 v21, 0x1800, v89
	v_add_u32_e32 v20, 0x3800, v89
	ds_read2_b64 v[25:28], v2 offset0:96 offset1:152
	ds_read2_b64 v[29:32], v3 offset0:86 offset1:142
	;; [unrolled: 1-line block ×14, first 2 shown]
	s_waitcnt lgkmcnt(0)
	; wave barrier
	s_waitcnt lgkmcnt(0)
	ds_write2_b64 v10, v[45:46], v[98:99] offset1:1
	ds_write2_b64 v10, v[13:14], v[87:88] offset0:2 offset1:3
	v_sub_f32_e32 v10, v15, v23
	v_sub_f32_e32 v19, v16, v24
	v_sub_f32_e32 v24, v33, v37
	v_sub_f32_e32 v23, v34, v38
	v_fma_f32 v15, v15, 2.0, -v10
	v_fma_f32 v16, v16, 2.0, -v19
	v_fma_f32 v13, v33, 2.0, -v24
	v_fma_f32 v14, v34, 2.0, -v23
	v_sub_f32_e32 v13, v15, v13
	v_sub_f32_e32 v14, v16, v14
	v_add_f32_e32 v23, v10, v23
	v_sub_f32_e32 v24, v19, v24
	v_fma_f32 v15, v15, 2.0, -v13
	v_fma_f32 v16, v16, 2.0, -v14
	v_fma_f32 v33, v10, 2.0, -v23
	v_fma_f32 v34, v19, 2.0, -v24
	v_lshl_add_u32 v10, v52, 5, 0
	ds_write2_b64 v10, v[15:16], v[33:34] offset1:1
	ds_write2_b64 v10, v[13:14], v[23:24] offset0:2 offset1:3
	v_sub_f32_e32 v10, v35, v39
	v_sub_f32_e32 v19, v36, v40
	v_sub_f32_e32 v33, v41, v63
	v_sub_f32_e32 v34, v42, v64
	v_fma_f32 v13, v35, 2.0, -v10
	v_fma_f32 v14, v36, 2.0, -v19
	v_fma_f32 v15, v41, 2.0, -v33
	v_fma_f32 v16, v42, 2.0, -v34
	v_sub_f32_e32 v13, v15, v13
	v_sub_f32_e32 v14, v16, v14
	v_add_f32_e32 v23, v33, v19
	v_sub_f32_e32 v24, v34, v10
	v_fma_f32 v15, v15, 2.0, -v13
	v_fma_f32 v16, v16, 2.0, -v14
	v_fma_f32 v33, v33, 2.0, -v23
	v_fma_f32 v34, v34, 2.0, -v24
	v_lshl_add_u32 v10, v62, 5, 0
	;; [unrolled: 19-line block ×4, first 2 shown]
	ds_write2_b64 v10, v[15:16], v[25:26] offset1:1
	ds_write2_b64 v10, v[13:14], v[23:24] offset0:2 offset1:3
	v_sub_f32_e32 v10, v27, v77
	v_sub_f32_e32 v19, v28, v78
	;; [unrolled: 1-line block ×4, first 2 shown]
	v_fma_f32 v15, v27, 2.0, -v10
	v_fma_f32 v16, v28, 2.0, -v19
	;; [unrolled: 1-line block ×4, first 2 shown]
	v_sub_f32_e32 v13, v15, v13
	v_sub_f32_e32 v14, v16, v14
	v_add_f32_e32 v23, v10, v23
	v_sub_f32_e32 v24, v19, v24
	v_fma_f32 v15, v15, 2.0, -v13
	v_fma_f32 v16, v16, 2.0, -v14
	v_fma_f32 v25, v10, 2.0, -v23
	v_fma_f32 v26, v19, 2.0, -v24
	ds_write2_b64 v49, v[15:16], v[25:26] offset1:1
	ds_write2_b64 v49, v[13:14], v[23:24] offset0:2 offset1:3
	v_sub_f32_e32 v10, v81, v31
	v_sub_f32_e32 v19, v82, v32
	;; [unrolled: 1-line block ×4, first 2 shown]
	v_fma_f32 v13, v81, 2.0, -v10
	v_fma_f32 v14, v82, 2.0, -v19
	;; [unrolled: 1-line block ×4, first 2 shown]
	v_sub_f32_e32 v13, v15, v13
	v_sub_f32_e32 v14, v16, v14
	v_add_f32_e32 v23, v25, v19
	v_sub_f32_e32 v24, v26, v10
	v_fma_f32 v15, v15, 2.0, -v13
	v_fma_f32 v16, v16, 2.0, -v14
	;; [unrolled: 1-line block ×4, first 2 shown]
	v_lshl_add_u32 v10, v60, 5, 0
	ds_write2_b64 v10, v[15:16], v[25:26] offset1:1
	ds_write2_b64 v10, v[13:14], v[23:24] offset0:2 offset1:3
	v_sub_f32_e32 v10, v85, v92
	v_sub_f32_e32 v19, v86, v93
	;; [unrolled: 1-line block ×4, first 2 shown]
	v_fma_f32 v13, v85, 2.0, -v10
	v_fma_f32 v14, v86, 2.0, -v19
	;; [unrolled: 1-line block ×4, first 2 shown]
	v_sub_f32_e32 v2, v13, v2
	v_sub_f32_e32 v3, v14, v3
	v_add_f32_e32 v15, v10, v15
	v_sub_f32_e32 v16, v19, v16
	v_fma_f32 v13, v13, 2.0, -v2
	v_fma_f32 v14, v14, 2.0, -v3
	;; [unrolled: 1-line block ×4, first 2 shown]
	v_lshl_add_u32 v10, v55, 5, 0
	ds_write2_b64 v10, v[13:14], v[23:24] offset1:1
	ds_write2_b64 v10, v[2:3], v[15:16] offset0:2 offset1:3
	v_sub_f32_e32 v2, v0, v17
	v_sub_f32_e32 v10, v1, v18
	;; [unrolled: 1-line block ×4, first 2 shown]
	v_add_f32_e32 v65, v2, v13
	v_sub_f32_e32 v66, v10, v3
	s_and_saveexec_b64 s[2:3], vcc
	s_cbranch_execz .LBB0_15
; %bb.14:
	v_fma_f32 v15, v10, 2.0, -v66
	v_fma_f32 v14, v2, 2.0, -v65
	;; [unrolled: 1-line block ×6, first 2 shown]
	v_sub_f32_e32 v1, v10, v1
	v_sub_f32_e32 v0, v2, v0
	v_fma_f32 v5, v10, 2.0, -v1
	v_fma_f32 v4, v2, 2.0, -v0
	v_lshl_add_u32 v2, v54, 5, 0
	ds_write2_b64 v2, v[4:5], v[14:15] offset1:1
	ds_write2_b64 v2, v[0:1], v[65:66] offset0:2 offset1:3
.LBB0_15:
	s_or_b64 exec, exec, s[2:3]
	v_and_b32_e32 v10, 3, v48
	v_mul_u32_u24_e32 v0, 6, v10
	v_lshlrev_b32_e32 v0, 3, v0
	s_waitcnt lgkmcnt(0)
	; wave barrier
	s_waitcnt lgkmcnt(0)
	global_load_dwordx4 v[13:16], v0, s[8:9]
	global_load_dwordx4 v[23:26], v0, s[8:9] offset:16
	global_load_dwordx4 v[27:30], v0, s[8:9] offset:32
	ds_read2_b64 v[31:34], v7 offset0:48 offset1:104
	ds_read2_b64 v[35:38], v21 offset0:16 offset1:72
	ds_read2_b64 v[39:42], v9 offset0:96 offset1:152
	ds_read2_b64 v[43:46], v6 offset0:64 offset1:120
	ds_read2_b64 v[67:70], v22 offset0:144 offset1:200
	ds_read2_b64 v[71:74], v12 offset0:80 offset1:136
	ds_read2_b64 v[75:78], v21 offset0:128 offset1:184
	ds_read2_b64 v[79:82], v6 offset0:176 offset1:232
	ds_read2_b64 v[83:86], v7 offset0:160 offset1:216
	ds_read2_b64 v[94:97], v20 offset1:56
	ds_read2_b64 v[98:101], v12 offset0:192 offset1:248
	ds_read2_b64 v[102:105], v11 offset0:112 offset1:168
	;; [unrolled: 1-line block ×3, first 2 shown]
	s_movk_i32 s2, 0xffe8
	v_add_u32_e32 v5, 0x2400, v89
	v_lshl_add_u32 v93, v52, 3, 0
	v_lshl_add_u32 v92, v62, 3, 0
	;; [unrolled: 1-line block ×4, first 2 shown]
	ds_read_b64 v[11:12], v89
	ds_read_b64 v[17:18], v89 offset:15232
	v_mad_i32_i24 v4, v58, s2, v49
	ds_read2_b64 v[110:113], v5 offset0:80 offset1:136
	ds_read_b64 v[63:64], v4
	ds_read_b64 v[87:88], v93
	;; [unrolled: 1-line block ×5, first 2 shown]
	s_mov_b32 s2, 0xbf5ff5aa
	s_mov_b32 s4, 0x3f3bfb3b
	;; [unrolled: 1-line block ×4, first 2 shown]
	s_waitcnt lgkmcnt(0)
	; wave barrier
	s_waitcnt lgkmcnt(0)
	v_cmp_gt_u32_e32 vcc, 28, v48
	s_waitcnt vmcnt(2)
	v_mul_f32_e32 v127, v72, v14
	s_waitcnt vmcnt(1)
	v_mul_f32_e32 v59, v38, v24
	v_mul_f32_e32 v116, v37, v24
	s_waitcnt vmcnt(0)
	v_mul_f32_e32 v132, v45, v28
	v_mul_f32_e32 v131, v46, v28
	v_fmac_f32_e32 v59, v37, v23
	v_fma_f32 v37, v38, v23, -v116
	v_fma_f32 v38, v46, v27, -v132
	v_mul_f32_e32 v46, v77, v24
	v_mul_f32_e32 v47, v63, v14
	;; [unrolled: 1-line block ×8, first 2 shown]
	v_fmac_f32_e32 v127, v71, v13
	v_fma_f32 v46, v78, v23, -v46
	v_mul_f32_e32 v71, v85, v16
	v_mul_f32_e32 v78, v99, v14
	;; [unrolled: 1-line block ×7, first 2 shown]
	v_fmac_f32_e32 v53, v31, v15
	v_fma_f32 v31, v32, v15, -v57
	v_fma_f32 v32, v34, v15, -v118
	;; [unrolled: 1-line block ×4, first 2 shown]
	v_fmac_f32_e32 v135, v77, v23
	v_mul_f32_e32 v47, v80, v28
	v_fma_f32 v77, v86, v15, -v71
	v_fmac_f32_e32 v78, v98, v13
	v_mul_f32_e32 v71, v98, v14
	v_mul_f32_e32 v98, v101, v14
	;; [unrolled: 1-line block ×3, first 2 shown]
	v_fmac_f32_e32 v121, v41, v25
	v_fma_f32 v41, v72, v13, -v128
	v_fmac_f32_e32 v129, v73, v13
	v_fma_f32 v57, v74, v13, -v130
	v_fmac_f32_e32 v19, v63, v13
	v_fmac_f32_e32 v47, v79, v27
	v_mul_f32_e32 v63, v79, v28
	v_fma_f32 v79, v99, v13, -v71
	v_fmac_f32_e32 v98, v100, v13
	v_fma_f32 v99, v101, v13, -v14
	v_mul_f32_e32 v13, v110, v26
	v_fma_f32 v72, v111, v25, -v13
	v_mul_f32_e32 v13, v35, v16
	;; [unrolled: 2-line block ×3, first 2 shown]
	v_mul_f32_e32 v119, v40, v26
	v_mul_f32_e32 v123, v68, v30
	;; [unrolled: 1-line block ×4, first 2 shown]
	v_fma_f32 v74, v95, v29, -v13
	v_mul_f32_e32 v13, v102, v24
	v_mul_f32_e32 v120, v39, v26
	;; [unrolled: 1-line block ×4, first 2 shown]
	v_fmac_f32_e32 v119, v39, v25
	v_fmac_f32_e32 v123, v67, v29
	v_fma_f32 v39, v68, v29, -v124
	v_fmac_f32_e32 v64, v81, v27
	v_mul_f32_e32 v67, v81, v28
	v_mul_f32_e32 v68, v84, v16
	v_fma_f32 v81, v103, v23, -v13
	v_mul_f32_e32 v13, v112, v26
	v_fmac_f32_e32 v117, v33, v15
	v_fma_f32 v33, v40, v25, -v120
	v_fmac_f32_e32 v125, v69, v29
	v_fma_f32 v40, v70, v29, -v126
	v_fmac_f32_e32 v68, v83, v15
	v_mul_f32_e32 v69, v83, v16
	v_mul_f32_e32 v70, v86, v16
	v_fma_f32 v83, v113, v25, -v13
	v_mul_f32_e32 v13, v106, v28
	v_fmac_f32_e32 v70, v85, v15
	v_mul_f32_e32 v73, v95, v30
	v_fma_f32 v85, v107, v27, -v13
	v_mul_f32_e32 v13, v96, v30
	v_fmac_f32_e32 v73, v94, v29
	v_mul_f32_e32 v86, v97, v30
	v_fma_f32 v94, v97, v29, -v13
	v_mul_f32_e32 v13, v104, v24
	v_fma_f32 v63, v80, v27, -v63
	v_mul_f32_e32 v80, v103, v24
	v_fmac_f32_e32 v86, v96, v29
	v_fma_f32 v96, v105, v23, -v13
	v_mul_f32_e32 v13, v43, v26
	v_fmac_f32_e32 v80, v102, v23
	v_mul_f32_e32 v95, v105, v24
	v_fma_f32 v102, v44, v25, -v13
	v_mul_f32_e32 v13, v108, v28
	v_fmac_f32_e32 v131, v45, v27
	v_fma_f32 v69, v84, v15, -v69
	v_mul_f32_e32 v84, v107, v28
	v_fmac_f32_e32 v95, v104, v23
	v_fma_f32 v104, v109, v27, -v13
	v_mul_f32_e32 v105, v18, v30
	v_mul_f32_e32 v13, v17, v30
	v_fmac_f32_e32 v84, v106, v27
	v_fmac_f32_e32 v105, v17, v29
	v_fma_f32 v106, v18, v29, -v13
	v_add_f32_e32 v13, v19, v123
	v_add_f32_e32 v17, v53, v131
	v_mul_f32_e32 v133, v76, v24
	v_mul_f32_e32 v134, v75, v24
	v_fma_f32 v67, v82, v27, -v67
	v_mul_f32_e32 v71, v111, v26
	v_mul_f32_e32 v82, v113, v26
	;; [unrolled: 1-line block ×4, first 2 shown]
	v_add_f32_e32 v14, v42, v39
	v_add_f32_e32 v18, v31, v38
	;; [unrolled: 1-line block ×4, first 2 shown]
	v_fmac_f32_e32 v71, v110, v25
	v_mul_f32_e32 v100, v36, v16
	v_fmac_f32_e32 v82, v112, v25
	v_fmac_f32_e32 v97, v43, v25
	v_add_f32_e32 v25, v37, v33
	v_add_f32_e32 v29, v18, v14
	v_sub_f32_e32 v30, v17, v13
	v_sub_f32_e32 v13, v13, v24
	;; [unrolled: 1-line block ×3, first 2 shown]
	v_add_f32_e32 v24, v24, v28
	v_fmac_f32_e32 v133, v75, v23
	v_fma_f32 v45, v76, v23, -v134
	v_fmac_f32_e32 v100, v35, v15
	v_sub_f32_e32 v15, v19, v123
	v_sub_f32_e32 v19, v53, v131
	;; [unrolled: 1-line block ×7, first 2 shown]
	v_add_f32_e32 v25, v25, v29
	v_add_f32_e32 v11, v24, v11
	v_fmac_f32_e32 v103, v108, v27
	v_sub_f32_e32 v16, v42, v39
	v_sub_f32_e32 v27, v33, v37
	v_add_f32_e32 v33, v26, v19
	v_sub_f32_e32 v36, v26, v19
	v_add_f32_e32 v12, v25, v12
	v_mov_b32_e32 v38, v11
	v_add_f32_e32 v35, v27, v23
	v_sub_f32_e32 v37, v27, v23
	v_sub_f32_e32 v26, v15, v26
	;; [unrolled: 1-line block ×4, first 2 shown]
	v_add_f32_e32 v15, v33, v15
	v_mul_f32_e32 v13, 0x3f4a47b2, v13
	v_mul_f32_e32 v14, 0x3f4a47b2, v14
	;; [unrolled: 1-line block ×5, first 2 shown]
	v_fmac_f32_e32 v38, 0xbf955555, v24
	v_mov_b32_e32 v24, v12
	v_sub_f32_e32 v27, v16, v27
	v_add_f32_e32 v16, v35, v16
	v_mul_f32_e32 v35, 0x3f08b237, v37
	v_mul_f32_e32 v36, 0xbf5ff5aa, v19
	;; [unrolled: 1-line block ×3, first 2 shown]
	v_fmac_f32_e32 v24, 0xbf955555, v25
	v_fma_f32 v25, v30, s4, -v28
	v_fma_f32 v28, v31, s4, -v29
	;; [unrolled: 1-line block ×3, first 2 shown]
	v_fmac_f32_e32 v13, 0x3d64c772, v17
	v_fma_f32 v17, v31, s3, -v14
	v_fmac_f32_e32 v14, 0x3d64c772, v18
	v_fma_f32 v19, v19, s2, -v33
	;; [unrolled: 2-line block ×4, first 2 shown]
	v_fma_f32 v27, v27, s5, -v37
	v_add_f32_e32 v31, v14, v24
	v_add_f32_e32 v28, v28, v24
	v_fmac_f32_e32 v33, 0xbee1c552, v15
	v_fmac_f32_e32 v19, 0xbee1c552, v15
	v_add_f32_e32 v30, v13, v38
	v_add_f32_e32 v25, v25, v38
	;; [unrolled: 1-line block ×4, first 2 shown]
	v_fmac_f32_e32 v35, 0xbee1c552, v16
	v_fmac_f32_e32 v23, 0xbee1c552, v16
	;; [unrolled: 1-line block ×4, first 2 shown]
	v_sub_f32_e32 v14, v31, v33
	v_add_f32_e32 v18, v19, v28
	v_sub_f32_e32 v24, v28, v19
	v_add_f32_e32 v28, v33, v31
	v_add_f32_e32 v19, v127, v125
	;; [unrolled: 1-line block ×5, first 2 shown]
	v_sub_f32_e32 v16, v36, v26
	v_sub_f32_e32 v17, v25, v23
	v_add_f32_e32 v23, v23, v25
	v_sub_f32_e32 v25, v29, v27
	v_add_f32_e32 v26, v26, v36
	;; [unrolled: 2-line block ×5, first 2 shown]
	v_add_f32_e32 v38, v45, v34
	v_sub_f32_e32 v39, v121, v133
	v_add_f32_e32 v40, v33, v19
	v_sub_f32_e32 v30, v127, v125
	;; [unrolled: 2-line block ×3, first 2 shown]
	v_sub_f32_e32 v43, v35, v29
	v_sub_f32_e32 v19, v19, v37
	;; [unrolled: 1-line block ×4, first 2 shown]
	v_add_f32_e32 v29, v39, v36
	v_add_f32_e32 v37, v37, v40
	v_sub_f32_e32 v32, v32, v63
	v_sub_f32_e32 v34, v34, v45
	v_sub_f32_e32 v35, v38, v35
	v_add_f32_e32 v38, v38, v41
	v_add_f32_e32 v40, v29, v30
	;; [unrolled: 1-line block ×4, first 2 shown]
	v_sub_f32_e32 v47, v39, v36
	v_sub_f32_e32 v53, v34, v32
	;; [unrolled: 1-line block ×5, first 2 shown]
	v_add_f32_e32 v30, v88, v38
	v_mov_b32_e32 v75, v29
	v_sub_f32_e32 v34, v31, v34
	v_add_f32_e32 v31, v45, v31
	v_mul_f32_e32 v19, 0x3f4a47b2, v19
	v_mul_f32_e32 v41, 0x3f4a47b2, v44
	;; [unrolled: 1-line block ×8, first 2 shown]
	v_fmac_f32_e32 v75, 0xbf955555, v37
	v_mov_b32_e32 v37, v30
	v_fmac_f32_e32 v37, 0xbf955555, v38
	v_fma_f32 v38, v42, s4, -v44
	v_fma_f32 v44, v43, s4, -v45
	;; [unrolled: 1-line block ×3, first 2 shown]
	v_fmac_f32_e32 v19, 0x3d64c772, v33
	v_fma_f32 v33, v43, s3, -v41
	v_fmac_f32_e32 v41, 0x3d64c772, v35
	v_fma_f32 v43, v36, s2, -v47
	v_fmac_f32_e32 v47, 0xbeae86e6, v39
	v_fma_f32 v45, v32, s2, -v53
	v_fmac_f32_e32 v53, 0xbeae86e6, v34
	v_fma_f32 v59, v39, s5, -v59
	v_fma_f32 v39, v34, s5, -v63
	v_add_f32_e32 v19, v19, v75
	v_add_f32_e32 v63, v41, v37
	;; [unrolled: 1-line block ×5, first 2 shown]
	v_fmac_f32_e32 v47, 0xbee1c552, v40
	v_fmac_f32_e32 v53, 0xbee1c552, v31
	;; [unrolled: 1-line block ×5, first 2 shown]
	v_add_f32_e32 v44, v33, v37
	v_fmac_f32_e32 v59, 0xbee1c552, v40
	v_add_f32_e32 v31, v53, v19
	v_sub_f32_e32 v32, v63, v47
	v_add_f32_e32 v33, v39, v42
	v_sub_f32_e32 v35, v38, v45
	v_add_f32_e32 v36, v43, v41
	v_add_f32_e32 v37, v45, v38
	v_sub_f32_e32 v38, v41, v43
	v_sub_f32_e32 v39, v42, v39
	;; [unrolled: 1-line block ×3, first 2 shown]
	v_add_f32_e32 v42, v47, v63
	v_add_f32_e32 v19, v129, v73
	;; [unrolled: 1-line block ×3, first 2 shown]
	v_sub_f32_e32 v34, v44, v59
	v_add_f32_e32 v40, v59, v44
	v_add_f32_e32 v43, v57, v74
	v_sub_f32_e32 v45, v57, v74
	v_add_f32_e32 v53, v69, v67
	v_sub_f32_e32 v57, v68, v64
	v_sub_f32_e32 v59, v69, v67
	v_add_f32_e32 v63, v135, v71
	v_add_f32_e32 v64, v46, v72
	v_sub_f32_e32 v67, v71, v135
	v_add_f32_e32 v68, v47, v19
	v_sub_f32_e32 v44, v129, v73
	v_sub_f32_e32 v46, v72, v46
	v_add_f32_e32 v69, v53, v43
	v_sub_f32_e32 v71, v47, v19
	v_sub_f32_e32 v72, v53, v43
	;; [unrolled: 1-line block ×5, first 2 shown]
	v_add_f32_e32 v43, v67, v57
	v_add_f32_e32 v63, v63, v68
	v_sub_f32_e32 v53, v64, v53
	v_add_f32_e32 v64, v64, v69
	v_add_f32_e32 v68, v43, v44
	;; [unrolled: 1-line block ×4, first 2 shown]
	v_sub_f32_e32 v75, v67, v57
	v_sub_f32_e32 v76, v46, v59
	v_sub_f32_e32 v67, v44, v67
	v_sub_f32_e32 v57, v57, v44
	v_sub_f32_e32 v59, v59, v45
	v_add_f32_e32 v44, v115, v64
	v_mov_b32_e32 v107, v43
	v_sub_f32_e32 v46, v45, v46
	v_add_f32_e32 v45, v74, v45
	v_mul_f32_e32 v19, 0x3f4a47b2, v19
	v_mul_f32_e32 v69, 0x3f4a47b2, v73
	;; [unrolled: 1-line block ×8, first 2 shown]
	v_fmac_f32_e32 v107, 0xbf955555, v63
	v_mov_b32_e32 v63, v44
	v_fmac_f32_e32 v63, 0xbf955555, v64
	v_fma_f32 v64, v71, s4, -v73
	v_fma_f32 v73, v72, s4, -v74
	;; [unrolled: 1-line block ×3, first 2 shown]
	v_fmac_f32_e32 v19, 0x3d64c772, v47
	v_fma_f32 v47, v72, s3, -v69
	v_fmac_f32_e32 v69, 0x3d64c772, v53
	v_fma_f32 v53, v57, s2, -v87
	v_fma_f32 v57, v59, s2, -v75
	v_fmac_f32_e32 v75, 0xbeae86e6, v46
	v_fma_f32 v59, v67, s5, -v76
	v_fma_f32 v74, v46, s5, -v88
	v_fmac_f32_e32 v87, 0xbeae86e6, v67
	v_add_f32_e32 v19, v19, v107
	v_add_f32_e32 v72, v64, v107
	;; [unrolled: 1-line block ×5, first 2 shown]
	v_fmac_f32_e32 v75, 0xbee1c552, v45
	v_fmac_f32_e32 v53, 0xbee1c552, v68
	v_fmac_f32_e32 v57, 0xbee1c552, v45
	v_fmac_f32_e32 v59, 0xbee1c552, v68
	v_fmac_f32_e32 v74, 0xbee1c552, v45
	v_add_f32_e32 v69, v69, v63
	v_fmac_f32_e32 v87, 0xbee1c552, v68
	v_add_f32_e32 v45, v75, v19
	v_add_f32_e32 v63, v74, v76
	v_sub_f32_e32 v64, v47, v59
	v_sub_f32_e32 v67, v72, v57
	v_add_f32_e32 v68, v53, v73
	v_add_f32_e32 v71, v57, v72
	v_sub_f32_e32 v72, v73, v53
	v_sub_f32_e32 v73, v76, v74
	v_add_f32_e32 v74, v59, v47
	v_sub_f32_e32 v75, v19, v75
	v_add_f32_e32 v19, v78, v86
	v_add_f32_e32 v59, v70, v84
	v_sub_f32_e32 v46, v69, v87
	v_add_f32_e32 v76, v87, v69
	;; [unrolled: 3-line block ×4, first 2 shown]
	v_sub_f32_e32 v57, v79, v94
	v_sub_f32_e32 v70, v70, v84
	v_add_f32_e32 v79, v81, v83
	v_sub_f32_e32 v81, v83, v81
	v_add_f32_e32 v83, v69, v47
	v_sub_f32_e32 v84, v59, v19
	v_sub_f32_e32 v19, v19, v78
	;; [unrolled: 1-line block ×3, first 2 shown]
	v_add_f32_e32 v78, v78, v82
	v_sub_f32_e32 v77, v77, v85
	v_sub_f32_e32 v85, v69, v47
	;; [unrolled: 1-line block ×4, first 2 shown]
	v_add_f32_e32 v79, v79, v83
	v_add_f32_e32 v2, v2, v78
	;; [unrolled: 1-line block ×4, first 2 shown]
	v_sub_f32_e32 v88, v80, v70
	v_sub_f32_e32 v94, v81, v77
	v_sub_f32_e32 v70, v70, v53
	v_add_f32_e32 v3, v3, v79
	v_mov_b32_e32 v107, v2
	v_sub_f32_e32 v80, v53, v80
	v_sub_f32_e32 v81, v57, v81
	;; [unrolled: 1-line block ×3, first 2 shown]
	v_add_f32_e32 v53, v86, v53
	v_add_f32_e32 v57, v87, v57
	v_mul_f32_e32 v19, 0x3f4a47b2, v19
	v_mul_f32_e32 v47, 0x3f4a47b2, v47
	;; [unrolled: 1-line block ×7, first 2 shown]
	v_fmac_f32_e32 v107, 0xbf955555, v78
	v_mov_b32_e32 v78, v3
	v_fmac_f32_e32 v78, 0xbf955555, v79
	v_fma_f32 v79, v84, s4, -v82
	v_fma_f32 v82, v85, s4, -v83
	;; [unrolled: 1-line block ×3, first 2 shown]
	v_fmac_f32_e32 v19, 0x3d64c772, v59
	v_fma_f32 v59, v85, s3, -v47
	v_fmac_f32_e32 v47, 0x3d64c772, v69
	v_fma_f32 v69, v70, s2, -v88
	v_fma_f32 v70, v77, s2, -v87
	v_fmac_f32_e32 v87, 0xbeae86e6, v81
	v_fma_f32 v86, v80, s5, -v86
	v_mul_f32_e32 v94, 0xbf5ff5aa, v77
	v_fmac_f32_e32 v88, 0xbeae86e6, v80
	v_add_f32_e32 v19, v19, v107
	v_add_f32_e32 v59, v59, v78
	v_fmac_f32_e32 v87, 0xbee1c552, v57
	v_fmac_f32_e32 v86, 0xbee1c552, v53
	v_fma_f32 v85, v81, s5, -v94
	v_add_f32_e32 v47, v47, v78
	v_add_f32_e32 v84, v79, v107
	;; [unrolled: 1-line block ×3, first 2 shown]
	v_fmac_f32_e32 v88, 0xbee1c552, v53
	v_fmac_f32_e32 v69, 0xbee1c552, v53
	;; [unrolled: 1-line block ×3, first 2 shown]
	v_add_f32_e32 v77, v87, v19
	v_sub_f32_e32 v80, v59, v86
	v_add_f32_e32 v86, v86, v59
	v_sub_f32_e32 v87, v19, v87
	v_add_f32_e32 v19, v98, v105
	v_add_f32_e32 v59, v100, v103
	;; [unrolled: 1-line block ×3, first 2 shown]
	v_sub_f32_e32 v78, v47, v88
	v_sub_f32_e32 v81, v84, v70
	v_add_f32_e32 v82, v69, v94
	v_add_f32_e32 v83, v70, v84
	v_sub_f32_e32 v84, v94, v69
	v_add_f32_e32 v88, v88, v47
	v_add_f32_e32 v47, v99, v106
	;; [unrolled: 3-line block ×3, first 2 shown]
	v_sub_f32_e32 v95, v97, v95
	v_add_f32_e32 v97, v59, v19
	v_fmac_f32_e32 v85, 0xbee1c552, v57
	v_sub_f32_e32 v57, v99, v106
	v_sub_f32_e32 v70, v100, v103
	v_add_f32_e32 v99, v96, v102
	v_add_f32_e32 v100, v69, v47
	;; [unrolled: 1-line block ×3, first 2 shown]
	v_sub_f32_e32 v94, v101, v104
	v_sub_f32_e32 v96, v102, v96
	v_sub_f32_e32 v101, v59, v19
	v_sub_f32_e32 v19, v19, v98
	v_sub_f32_e32 v59, v98, v59
	v_add_f32_e32 v98, v99, v100
	v_add_f32_e32 v0, v0, v97
	;; [unrolled: 1-line block ×3, first 2 shown]
	v_sub_f32_e32 v85, v107, v85
	v_sub_f32_e32 v102, v69, v47
	;; [unrolled: 1-line block ×4, first 2 shown]
	v_add_f32_e32 v104, v96, v94
	v_sub_f32_e32 v105, v95, v70
	v_sub_f32_e32 v106, v96, v94
	v_add_f32_e32 v1, v1, v98
	v_mov_b32_e32 v107, v0
	v_add_f32_e32 v103, v95, v70
	v_sub_f32_e32 v96, v57, v96
	v_sub_f32_e32 v70, v70, v53
	;; [unrolled: 1-line block ×3, first 2 shown]
	v_add_f32_e32 v57, v104, v57
	v_mul_f32_e32 v19, 0x3f4a47b2, v19
	v_mul_f32_e32 v47, 0x3f4a47b2, v47
	;; [unrolled: 1-line block ×6, first 2 shown]
	v_fmac_f32_e32 v107, 0xbf955555, v97
	v_mov_b32_e32 v97, v1
	v_sub_f32_e32 v95, v53, v95
	v_add_f32_e32 v53, v103, v53
	v_mul_f32_e32 v103, 0xbf5ff5aa, v70
	v_mul_f32_e32 v106, 0xbf5ff5aa, v94
	v_fmac_f32_e32 v97, 0xbf955555, v98
	v_fma_f32 v98, v101, s4, -v99
	v_fma_f32 v99, v102, s4, -v100
	;; [unrolled: 1-line block ×3, first 2 shown]
	v_fmac_f32_e32 v19, 0x3d64c772, v59
	v_fma_f32 v59, v102, s3, -v47
	v_fmac_f32_e32 v47, 0x3d64c772, v69
	v_fma_f32 v69, v70, s2, -v104
	v_fma_f32 v70, v94, s2, -v105
	v_fmac_f32_e32 v105, 0xbeae86e6, v96
	v_fma_f32 v102, v96, s5, -v106
	v_add_f32_e32 v19, v19, v107
	v_add_f32_e32 v101, v98, v107
	;; [unrolled: 1-line block ×3, first 2 shown]
	v_fmac_f32_e32 v105, 0xbee1c552, v57
	v_fmac_f32_e32 v69, 0xbee1c552, v53
	;; [unrolled: 1-line block ×3, first 2 shown]
	v_add_f32_e32 v107, v100, v107
	v_add_f32_e32 v94, v105, v19
	v_sub_f32_e32 v98, v101, v70
	v_add_f32_e32 v99, v69, v106
	v_add_f32_e32 v100, v70, v101
	v_sub_f32_e32 v101, v106, v69
	v_sub_f32_e32 v69, v19, v105
	v_lshrrev_b32_e32 v19, 2, v48
	v_mul_u32_u24_e32 v19, 28, v19
	v_or_b32_e32 v19, v19, v10
	v_lshl_add_u32 v19, v19, 3, 0
	ds_write2_b64 v19, v[11:12], v[13:14] offset1:4
	v_lshrrev_b32_e32 v11, 2, v52
	v_mul_lo_u32 v11, v11, 28
	v_lshrrev_b32_e32 v12, 2, v62
	v_mul_lo_u32 v12, v12, 28
	ds_write2_b64 v19, v[15:16], v[17:18] offset0:8 offset1:12
	ds_write2_b64 v19, v[23:24], v[25:26] offset0:16 offset1:20
	ds_write_b64 v19, v[27:28] offset:192
	v_or_b32_e32 v11, v11, v10
	v_lshl_add_u32 v11, v11, 3, 0
	ds_write2_b64 v11, v[29:30], v[31:32] offset1:4
	ds_write2_b64 v11, v[33:34], v[35:36] offset0:8 offset1:12
	ds_write2_b64 v11, v[37:38], v[39:40] offset0:16 offset1:20
	ds_write_b64 v11, v[41:42] offset:192
	v_or_b32_e32 v11, v12, v10
	v_lshrrev_b32_e32 v12, 2, v61
	v_mul_lo_u32 v12, v12, 28
	v_lshl_add_u32 v11, v11, 3, 0
	ds_write2_b64 v11, v[43:44], v[45:46] offset1:4
	ds_write2_b64 v11, v[63:64], v[67:68] offset0:8 offset1:12
	ds_write2_b64 v11, v[71:72], v[73:74] offset0:16 offset1:20
	ds_write_b64 v11, v[75:76] offset:192
	v_or_b32_e32 v11, v12, v10
	v_lshl_add_u32 v11, v11, 3, 0
	ds_write2_b64 v11, v[2:3], v[77:78] offset1:4
	v_lshrrev_b32_e32 v2, 2, v56
	v_mul_lo_u32 v2, v2, 28
	v_fmac_f32_e32 v104, 0xbeae86e6, v95
	v_fma_f32 v103, v95, s5, -v103
	v_add_f32_e32 v47, v47, v97
	v_fmac_f32_e32 v104, 0xbee1c552, v53
	v_or_b32_e32 v2, v2, v10
	v_add_f32_e32 v59, v59, v97
	v_fmac_f32_e32 v103, 0xbee1c552, v53
	v_fmac_f32_e32 v102, 0xbee1c552, v57
	v_sub_f32_e32 v95, v47, v104
	v_lshl_add_u32 v2, v2, 3, 0
	v_add_f32_e32 v96, v102, v107
	v_sub_f32_e32 v97, v59, v103
	v_sub_f32_e32 v102, v107, v102
	v_add_f32_e32 v103, v103, v59
	v_add_f32_e32 v70, v104, v47
	ds_write2_b64 v11, v[79:80], v[81:82] offset0:8 offset1:12
	ds_write2_b64 v11, v[83:84], v[85:86] offset0:16 offset1:20
	ds_write_b64 v11, v[87:88] offset:192
	ds_write2_b64 v2, v[0:1], v[94:95] offset1:4
	ds_write2_b64 v2, v[96:97], v[98:99] offset0:8 offset1:12
	ds_write2_b64 v2, v[100:101], v[102:103] offset0:16 offset1:20
	ds_write_b64 v2, v[69:70] offset:192
	s_waitcnt lgkmcnt(0)
	; wave barrier
	s_waitcnt lgkmcnt(0)
	ds_read_b64 v[87:88], v89
	ds_read_b32 v108, v89 offset:7844
	ds_read_b64 v[63:64], v89 offset:7840
	ds_read2_b64 v[28:31], v9 offset0:12 offset1:68
	ds_read2_b64 v[16:19], v9 offset0:124 offset1:180
	ds_read_b64 v[85:86], v93
	ds_read_b64 v[83:84], v92
	;; [unrolled: 1-line block ×4, first 2 shown]
	ds_read2_b64 v[32:35], v5 offset0:108 offset1:164
	v_lshl_add_u32 v96, v60, 3, 0
	v_add_u32_e32 v0, 0xc00, v89
	v_lshl_add_u32 v95, v55, 3, 0
	ds_read_b64 v[77:78], v96
	ds_read_b64 v[71:72], v95
	ds_read2_b64 v[36:39], v6 offset0:92 offset1:148
	v_lshl_add_u32 v94, v54, 3, 0
	ds_read_b64 v[81:82], v4
	ds_read_b64 v[73:74], v94
	ds_read2_b64 v[12:15], v0 offset0:120 offset1:176
	ds_read2_b64 v[44:47], v8 offset0:76 offset1:132
	;; [unrolled: 1-line block ×4, first 2 shown]
	v_add_u32_e32 v0, 0x1400, v89
	ds_read2_b64 v[4:7], v0 offset0:88 offset1:144
	ds_read2_b64 v[24:27], v22 offset0:172 offset1:228
	;; [unrolled: 1-line block ×4, first 2 shown]
	s_and_saveexec_b64 s[2:3], vcc
	s_cbranch_execz .LBB0_17
; %bb.16:
	ds_read_b64 v[69:70], v89 offset:7616
	ds_read_b64 v[65:66], v89 offset:15456
.LBB0_17:
	s_or_b64 exec, exec, s[2:3]
	v_lshrrev_b16_e32 v53, 2, v52
	v_and_b32_e32 v53, 63, v53
	v_mul_lo_u16_e32 v111, 37, v53
	v_mov_b32_e32 v57, 28
	v_mul_lo_u16_sdwa v53, v111, v57 dst_sel:DWORD dst_unused:UNUSED_PAD src0_sel:BYTE_1 src1_sel:DWORD
	v_sub_u16_e32 v53, v52, v53
	v_mov_b32_e32 v59, 3
	v_lshlrev_b32_sdwa v112, v59, v53 dst_sel:DWORD dst_unused:UNUSED_PAD src0_sel:DWORD src1_sel:BYTE_0
	v_lshrrev_b16_e32 v53, 2, v62
	v_and_b32_e32 v53, 63, v53
	v_mul_lo_u16_e32 v109, 37, v53
	v_mul_lo_u16_sdwa v53, v109, v57 dst_sel:DWORD dst_unused:UNUSED_PAD src0_sel:BYTE_1 src1_sel:DWORD
	v_sub_u16_e32 v53, v62, v53
	v_lshlrev_b32_sdwa v110, v59, v53 dst_sel:DWORD dst_unused:UNUSED_PAD src0_sel:DWORD src1_sel:BYTE_0
	v_lshrrev_b16_e32 v53, 2, v61
	v_and_b32_e32 v53, 63, v53
	v_mul_lo_u16_e32 v53, 37, v53
	v_mul_lo_u16_sdwa v57, v53, v57 dst_sel:DWORD dst_unused:UNUSED_PAD src0_sel:BYTE_1 src1_sel:DWORD
	v_sub_u16_e32 v57, v61, v57
	v_lshlrev_b32_sdwa v57, v59, v57 dst_sel:DWORD dst_unused:UNUSED_PAD src0_sel:DWORD src1_sel:BYTE_0
	v_lshrrev_b16_e32 v59, 2, v56
	v_mul_u32_u24_e32 v59, 0x4925, v59
	v_lshrrev_b32_e32 v59, 17, v59
	s_waitcnt lgkmcnt(14)
	v_mul_lo_u16_e32 v64, 28, v59
	v_sub_u16_e32 v64, v56, v64
	v_lshlrev_b32_e32 v97, 3, v64
	v_lshrrev_b16_e32 v64, 2, v58
	v_mul_u32_u24_e32 v64, 0x4925, v64
	v_lshrrev_b32_e32 v98, 17, v64
	v_mul_lo_u16_e32 v64, 28, v98
	v_sub_u16_e32 v64, v58, v64
	v_lshlrev_b32_e32 v99, 3, v64
	v_lshrrev_b16_e32 v64, 2, v60
	v_mul_u32_u24_e32 v64, 0x4925, v64
	v_lshrrev_b32_e32 v100, 17, v64
	v_mul_lo_u16_e32 v64, 28, v100
	v_sub_u16_e32 v64, v60, v64
	v_lshlrev_b32_e32 v101, 3, v64
	v_lshrrev_b16_e32 v64, 2, v55
	v_lshrrev_b16_e32 v67, 2, v54
	v_add_u16_e32 v68, 0x1f8, v48
	v_mul_u32_u24_e32 v64, 0x4925, v64
	v_mul_u32_u24_e32 v67, 0x4925, v67
	v_lshrrev_b16_e32 v102, 2, v68
	v_lshrrev_b32_e32 v104, 17, v64
	v_lshrrev_b32_e32 v103, 17, v67
	v_mul_u32_u24_e32 v64, 0x4925, v102
	v_mul_lo_u16_e32 v67, 28, v104
	v_mul_lo_u16_e32 v105, 28, v103
	v_lshrrev_b32_e32 v102, 17, v64
	v_sub_u16_e32 v64, v55, v67
	v_sub_u16_e32 v67, v54, v105
	v_mul_lo_u16_e32 v105, 28, v102
	v_lshlrev_b32_e32 v107, 3, v64
	v_sub_u16_e32 v64, v68, v105
	v_lshlrev_b32_e32 v105, 3, v64
	v_add_u16_e32 v64, 0x230, v48
	v_lshlrev_b32_e32 v106, 3, v67
	v_lshrrev_b16_e32 v67, 2, v64
	v_mul_u32_u24_e32 v67, 0x4925, v67
	v_lshrrev_b32_e32 v113, 17, v67
	v_mul_lo_u16_e32 v67, 28, v113
	v_sub_u16_e32 v64, v64, v67
	v_lshlrev_b32_e32 v114, 3, v64
	v_add_u16_e32 v64, 0x268, v48
	v_lshrrev_b16_e32 v67, 2, v64
	v_mul_u32_u24_e32 v67, 0x4925, v67
	v_lshrrev_b32_e32 v115, 17, v67
	v_mul_lo_u16_e32 v67, 28, v115
	v_sub_u16_e32 v64, v64, v67
	v_lshlrev_b32_e32 v116, 3, v64
	v_add_u16_e32 v64, 0x2a0, v48
	;; [unrolled: 7-line block ×5, first 2 shown]
	v_lshrrev_b16_e32 v67, 2, v64
	v_mul_u32_u24_e32 v67, 0x4925, v67
	v_lshrrev_b32_e32 v157, 17, v67
	v_mul_lo_u16_e32 v67, 28, v157
	v_sub_u16_e32 v64, v64, v67
	v_lshlrev_b32_e32 v158, 3, v64
	v_or_b32_e32 v64, 0x380, v48
	global_load_dwordx2 v[117:118], v112, s[8:9] offset:192
	global_load_dwordx2 v[119:120], v110, s[8:9] offset:192
	;; [unrolled: 1-line block ×3, first 2 shown]
	v_lshrrev_b16_e32 v67, 2, v64
	global_load_dwordx2 v[123:124], v97, s[8:9] offset:192
	global_load_dwordx2 v[125:126], v99, s[8:9] offset:192
	;; [unrolled: 1-line block ×4, first 2 shown]
	v_mul_u32_u24_e32 v67, 0x4925, v67
	v_lshrrev_b32_e32 v159, 17, v67
	v_mul_lo_u16_e32 v67, 28, v159
	v_sub_u16_e32 v67, v64, v67
	global_load_dwordx2 v[131:132], v106, s[8:9] offset:192
	global_load_dwordx2 v[133:134], v105, s[8:9] offset:192
	;; [unrolled: 1-line block ×4, first 2 shown]
	v_lshlrev_b32_e32 v160, 3, v67
	v_subrev_u32_e32 v67, 28, v48
	v_cndmask_b32_e32 v67, v67, v48, vcc
	v_mov_b32_e32 v68, 0
	v_lshlrev_b64 v[149:150], 3, v[67:68]
	global_load_dwordx2 v[139:140], v152, s[8:9] offset:192
	global_load_dwordx2 v[141:142], v154, s[8:9] offset:192
	;; [unrolled: 1-line block ×4, first 2 shown]
	v_mov_b32_e32 v161, s9
	v_add_co_u32_e64 v149, s[2:3], s8, v149
	global_load_dwordx2 v[147:148], v160, s[8:9] offset:192
	v_addc_co_u32_e64 v150, s[2:3], v161, v150, s[2:3]
	global_load_dwordx2 v[149:150], v[149:150], off offset:192
	v_cmp_lt_u32_e64 s[2:3], 27, v48
	s_waitcnt lgkmcnt(0)
	; wave barrier
	s_waitcnt vmcnt(16) lgkmcnt(0)
	v_mul_f32_e32 v161, v118, v29
	v_mul_f32_e32 v118, v118, v28
	s_waitcnt vmcnt(15)
	v_mul_f32_e32 v162, v120, v31
	v_mul_f32_e32 v120, v120, v30
	s_waitcnt vmcnt(14)
	v_mul_f32_e32 v163, v122, v17
	v_fmac_f32_e32 v161, v117, v28
	v_fma_f32 v28, v117, v29, -v118
	v_mul_f32_e32 v29, v122, v16
	v_fmac_f32_e32 v162, v119, v30
	v_fma_f32 v30, v119, v31, -v120
	s_waitcnt vmcnt(12)
	v_mul_f32_e32 v118, v126, v33
	v_mul_f32_e32 v119, v126, v32
	v_fmac_f32_e32 v163, v121, v16
	s_waitcnt vmcnt(10)
	v_mul_f32_e32 v16, v36, v130
	v_mul_f32_e32 v120, v128, v35
	;; [unrolled: 1-line block ×3, first 2 shown]
	v_fmac_f32_e32 v118, v125, v32
	v_fma_f32 v119, v125, v33, -v119
	v_fma_f32 v125, v37, v129, -v16
	s_waitcnt vmcnt(9)
	v_mul_f32_e32 v16, v38, v132
	v_mul_f32_e32 v117, v124, v19
	;; [unrolled: 1-line block ×3, first 2 shown]
	v_fmac_f32_e32 v120, v127, v34
	v_fma_f32 v122, v127, v35, -v122
	v_fma_f32 v127, v39, v131, -v16
	s_waitcnt vmcnt(8)
	v_mul_f32_e32 v16, v44, v134
	v_fmac_f32_e32 v117, v123, v18
	v_fma_f32 v123, v123, v19, -v31
	v_fma_f32 v31, v45, v133, -v16
	s_waitcnt vmcnt(7)
	v_mul_f32_e32 v16, v46, v136
	v_fma_f32 v33, v47, v135, -v16
	s_waitcnt vmcnt(6)
	v_mul_f32_e32 v16, v40, v138
	;; [unrolled: 3-line block ×3, first 2 shown]
	v_mul_f32_e32 v124, v37, v130
	v_fma_f32 v37, v43, v139, -v16
	s_waitcnt vmcnt(4)
	v_mul_f32_e32 v16, v24, v142
	v_mul_f32_e32 v126, v39, v132
	v_fma_f32 v39, v25, v141, -v16
	s_waitcnt vmcnt(3)
	v_mul_f32_e32 v16, v26, v144
	;; [unrolled: 4-line block ×3, first 2 shown]
	v_fmac_f32_e32 v124, v36, v129
	v_mul_f32_e32 v36, v43, v140
	v_fma_f32 v43, v21, v145, -v16
	s_waitcnt vmcnt(1)
	v_mul_f32_e32 v16, v22, v148
	v_fma_f32 v121, v121, v17, -v29
	v_mul_f32_e32 v29, v45, v134
	v_fmac_f32_e32 v36, v42, v139
	v_mul_f32_e32 v42, v21, v146
	v_fma_f32 v45, v23, v147, -v16
	s_waitcnt vmcnt(0)
	v_mul_f32_e32 v16, v108, v150
	v_mul_f32_e32 v17, v150, v63
	v_fmac_f32_e32 v42, v20, v145
	v_fmac_f32_e32 v16, v149, v63
	v_fma_f32 v17, v108, v149, -v17
	v_mov_b32_e32 v20, 0x1c0
	v_sub_f32_e32 v16, v87, v16
	v_sub_f32_e32 v17, v88, v17
	v_cndmask_b32_e64 v20, 0, v20, s[2:3]
	v_lshlrev_b32_e32 v21, 3, v67
	v_fma_f32 v18, v87, 2.0, -v16
	v_fma_f32 v19, v88, 2.0, -v17
	v_add3_u32 v20, 0, v20, v21
	s_movk_i32 s2, 0x1c0
	v_fmac_f32_e32 v29, v44, v133
	v_mul_f32_e32 v44, v23, v148
	ds_write2_b64 v20, v[18:19], v[16:17] offset1:28
	v_sub_f32_e32 v16, v85, v161
	v_sub_f32_e32 v17, v86, v28
	v_mul_u32_u24_sdwa v18, v111, s2 dst_sel:DWORD dst_unused:UNUSED_PAD src0_sel:BYTE_1 src1_sel:DWORD
	v_fmac_f32_e32 v34, v40, v137
	v_mul_f32_e32 v40, v27, v144
	v_fmac_f32_e32 v44, v22, v147
	v_fma_f32 v22, v85, 2.0, -v16
	v_fma_f32 v23, v86, 2.0, -v17
	v_add3_u32 v18, 0, v18, v112
	v_fmac_f32_e32 v126, v38, v131
	v_mul_f32_e32 v38, v25, v142
	v_fmac_f32_e32 v40, v26, v143
	ds_write2_b64 v18, v[22:23], v[16:17] offset1:28
	v_sub_f32_e32 v22, v83, v162
	v_sub_f32_e32 v23, v84, v30
	v_mul_u32_u24_sdwa v26, v109, s2 dst_sel:DWORD dst_unused:UNUSED_PAD src0_sel:BYTE_1 src1_sel:DWORD
	v_mul_f32_e32 v32, v47, v136
	v_fmac_f32_e32 v38, v24, v141
	v_fma_f32 v24, v83, 2.0, -v22
	v_fma_f32 v25, v84, 2.0, -v23
	v_add3_u32 v26, 0, v26, v110
	v_fmac_f32_e32 v32, v46, v135
	ds_write2_b64 v26, v[24:25], v[22:23] offset1:28
	v_sub_f32_e32 v23, v13, v31
	v_sub_f32_e32 v27, v9, v35
	;; [unrolled: 1-line block ×13, first 2 shown]
	v_fma_f32 v37, v1, 2.0, -v35
	v_fma_f32 v1, v2, 2.0, -v38
	;; [unrolled: 1-line block ×3, first 2 shown]
	v_sub_f32_e32 v40, v79, v163
	v_sub_f32_e32 v41, v80, v121
	v_mul_u32_u24_sdwa v3, v53, s2 dst_sel:DWORD dst_unused:UNUSED_PAD src0_sel:BYTE_1 src1_sel:DWORD
	v_sub_f32_e32 v26, v8, v34
	v_sub_f32_e32 v34, v0, v42
	v_fma_f32 v42, v79, 2.0, -v40
	v_fma_f32 v43, v80, 2.0, -v41
	v_add3_u32 v3, 0, v3, v57
	v_sub_f32_e32 v44, v75, v117
	v_sub_f32_e32 v45, v76, v123
	ds_write2_b64 v3, v[42:43], v[40:41] offset1:28
	v_mul_u32_u24_e32 v3, 0x1c0, v59
	v_fma_f32 v46, v75, 2.0, -v44
	v_fma_f32 v47, v76, 2.0, -v45
	v_add3_u32 v3, 0, v3, v97
	v_sub_f32_e32 v75, v81, v118
	v_sub_f32_e32 v76, v82, v119
	ds_write2_b64 v3, v[46:47], v[44:45] offset1:28
	v_mul_u32_u24_e32 v3, 0x1c0, v98
	;; [unrolled: 7-line block ×5, first 2 shown]
	v_fma_f32 v73, v73, 2.0, -v85
	v_fma_f32 v74, v74, 2.0, -v86
	v_add3_u32 v3, 0, v3, v106
	ds_write2_b64 v3, v[73:74], v[85:86] offset1:28
	v_mul_u32_u24_e32 v3, 0x1c0, v102
	v_fma_f32 v12, v12, 2.0, -v22
	v_fma_f32 v13, v13, 2.0, -v23
	v_add3_u32 v3, 0, v3, v105
	ds_write2_b64 v3, v[12:13], v[22:23] offset1:28
	v_mul_u32_u24_e32 v3, 0x1c0, v113
	;; [unrolled: 5-line block ×3, first 2 shown]
	v_fma_f32 v8, v8, 2.0, -v26
	v_fma_f32 v9, v9, 2.0, -v27
	v_add3_u32 v3, 0, v3, v116
	v_sub_f32_e32 v28, v10, v36
	ds_write2_b64 v3, v[8:9], v[26:27] offset1:28
	v_mul_u32_u24_e32 v3, 0x1c0, v151
	v_fma_f32 v10, v10, 2.0, -v28
	v_fma_f32 v11, v11, 2.0, -v29
	v_add3_u32 v3, 0, v3, v152
	ds_write2_b64 v3, v[10:11], v[28:29] offset1:28
	v_mul_u32_u24_e32 v3, 0x1c0, v153
	v_fma_f32 v4, v4, 2.0, -v30
	v_fma_f32 v5, v5, 2.0, -v31
	v_add3_u32 v3, 0, v3, v154
	ds_write2_b64 v3, v[4:5], v[30:31] offset1:28
	v_mul_u32_u24_e32 v3, 0x1c0, v155
	v_fma_f32 v6, v6, 2.0, -v32
	v_fma_f32 v7, v7, 2.0, -v33
	v_add3_u32 v3, 0, v3, v156
	ds_write2_b64 v3, v[6:7], v[32:33] offset1:28
	v_mul_u32_u24_e32 v3, 0x1c0, v157
	v_fma_f32 v36, v0, 2.0, -v34
	v_add3_u32 v3, 0, v3, v158
	ds_write2_b64 v3, v[36:37], v[34:35] offset1:28
	v_mul_u32_u24_e32 v3, 0x1c0, v159
	v_lshlrev_b32_e32 v21, 2, v48
	v_lshlrev_b32_e32 v20, 2, v52
	;; [unrolled: 1-line block ×7, first 2 shown]
	v_mul_i32_i24_e32 v0, 0xffffffe8, v58
	v_add3_u32 v3, 0, v3, v160
	ds_write2_b64 v3, v[1:2], v[38:39] offset1:28
	s_and_saveexec_b64 s[2:3], vcc
	s_cbranch_execz .LBB0_19
; %bb.18:
	v_add_u16_e32 v1, 0x3b8, v48
	v_lshrrev_b16_e32 v2, 2, v1
	v_mul_u32_u24_e32 v2, 0x4925, v2
	v_lshrrev_b32_e32 v2, 17, v2
	v_mul_lo_u16_e32 v2, 28, v2
	v_sub_u16_e32 v1, v1, v2
	v_lshlrev_b32_e32 v3, 3, v1
	global_load_dwordx2 v[1:2], v3, s[8:9] offset:192
	v_add_u32_e32 v5, 0, v3
	v_add_u32_e32 v5, 0x3800, v5
	s_waitcnt vmcnt(0)
	v_mul_f32_e32 v3, v65, v2
	v_mul_f32_e32 v4, v66, v2
	v_fma_f32 v2, v66, v1, -v3
	v_fmac_f32_e32 v4, v65, v1
	v_sub_f32_e32 v2, v70, v2
	v_sub_f32_e32 v1, v69, v4
	v_fma_f32 v4, v70, 2.0, -v2
	v_fma_f32 v3, v69, 2.0, -v1
	ds_write2_b64 v5, v[3:4], v[1:2] offset0:112 offset1:140
.LBB0_19:
	s_or_b64 exec, exec, s[2:3]
	v_mul_u32_u24_e32 v1, 6, v48
	v_lshlrev_b32_e32 v1, 3, v1
	s_waitcnt lgkmcnt(0)
	; wave barrier
	s_waitcnt lgkmcnt(0)
	global_load_dwordx4 v[25:28], v1, s[8:9] offset:416
	global_load_dwordx4 v[29:32], v1, s[8:9] offset:432
	;; [unrolled: 1-line block ×3, first 2 shown]
	v_lshrrev_b16_e32 v14, 3, v62
	v_and_b32_e32 v14, 31, v14
	v_mov_b32_e32 v47, 56
	v_mul_lo_u16_e32 v14, 37, v14
	v_mul_lo_u16_sdwa v14, v14, v47 dst_sel:DWORD dst_unused:UNUSED_PAD src0_sel:BYTE_1 src1_sel:DWORD
	v_sub_u16_e32 v14, v62, v14
	v_and_b32_e32 v14, 0xff, v14
	v_mul_u32_u24_e32 v57, 6, v14
	v_add_u32_e32 v24, v49, v0
	v_add_u32_e32 v7, 0x2800, v89
	;; [unrolled: 1-line block ×3, first 2 shown]
	v_lshrrev_b16_e32 v49, 3, v61
	v_lshlrev_b32_e32 v57, 3, v57
	v_add_u32_e32 v6, 0x1000, v89
	v_add_u32_e32 v8, 0x1800, v89
	;; [unrolled: 1-line block ×7, first 2 shown]
	ds_read_b64 v[22:23], v93
	ds_read_b64 v[4:5], v92
	;; [unrolled: 1-line block ×5, first 2 shown]
	ds_read_b64 v[153:154], v89 offset:15232
	ds_read_b64 v[45:46], v24
	ds_read2_b64 v[37:40], v6 offset0:48 offset1:104
	ds_read2_b64 v[41:44], v8 offset0:16 offset1:72
	;; [unrolled: 1-line block ×3, first 2 shown]
	global_load_dwordx4 v[73:76], v57, s[8:9] offset:416
	ds_read2_b64 v[77:80], v7 offset0:64 offset1:120
	ds_read2_b64 v[81:84], v9 offset0:144 offset1:200
	ds_read2_b64 v[85:88], v10 offset0:80 offset1:136
	ds_read2_b64 v[97:100], v8 offset0:128 offset1:184
	ds_read2_b64 v[101:104], v7 offset0:176 offset1:232
	ds_read2_b64 v[105:108], v6 offset0:160 offset1:216
	global_load_dwordx4 v[109:112], v57, s[8:9] offset:448
	global_load_dwordx4 v[113:116], v57, s[8:9] offset:432
	ds_read2_b64 v[117:120], v11 offset0:80 offset1:136
	ds_read2_b64 v[121:124], v13 offset1:56
	ds_read2_b64 v[125:128], v10 offset0:192 offset1:248
	ds_read2_b64 v[129:132], v15 offset0:112 offset1:168
	;; [unrolled: 1-line block ×3, first 2 shown]
	v_and_b32_e32 v11, 31, v49
	v_mul_lo_u16_e32 v11, 37, v11
	v_lshrrev_b16_e32 v53, 3, v56
	v_mul_lo_u16_sdwa v11, v11, v47 dst_sel:DWORD dst_unused:UNUSED_PAD src0_sel:BYTE_1 src1_sel:DWORD
	v_mul_u32_u24_e32 v15, 0x2493, v53
	v_sub_u16_e32 v11, v61, v11
	v_mul_lo_u16_sdwa v49, v15, v47 dst_sel:DWORD dst_unused:UNUSED_PAD src0_sel:WORD_1 src1_sel:DWORD
	v_and_b32_e32 v15, 0xff, v11
	v_mul_u32_u24_e32 v11, 6, v15
	v_lshlrev_b32_e32 v47, 3, v11
	global_load_dwordx4 v[137:140], v47, s[8:9] offset:432
	global_load_dwordx4 v[141:144], v47, s[8:9] offset:416
	v_sub_u16_e32 v11, v56, v49
	global_load_dwordx4 v[145:148], v47, s[8:9] offset:448
	s_mov_b32 s2, 0xbf5ff5aa
	s_mov_b32 s3, 0xbf3bfb3b
	v_lshl_add_u32 v14, v14, 3, 0
	s_add_u32 s6, s8, 0x3d20
	s_addc_u32 s7, s9, 0
	s_waitcnt vmcnt(8) lgkmcnt(13)
	v_mul_f32_e32 v57, v28, v38
	s_waitcnt vmcnt(7) lgkmcnt(12)
	v_mul_f32_e32 v63, v44, v30
	v_mul_f32_e32 v59, v28, v37
	;; [unrolled: 1-line block ×3, first 2 shown]
	v_fmac_f32_e32 v63, v43, v29
	v_mul_u32_u24_e32 v43, 6, v11
	v_mul_f32_e32 v49, v26, v46
	v_mul_f32_e32 v53, v26, v45
	v_fmac_f32_e32 v57, v27, v37
	v_fma_f32 v37, v27, v38, -v59
	v_lshlrev_b32_e32 v59, 3, v43
	s_waitcnt lgkmcnt(11)
	v_mul_f32_e32 v150, v69, v32
	s_waitcnt vmcnt(6) lgkmcnt(10)
	v_mul_f32_e32 v156, v80, v34
	v_fmac_f32_e32 v49, v25, v45
	v_fma_f32 v53, v25, v46, -v53
	v_fma_f32 v38, v44, v29, -v149
	global_load_dwordx4 v[43:46], v59, s[8:9] offset:416
	v_mul_f32_e32 v155, v70, v32
	v_mul_f32_e32 v151, v79, v34
	v_fma_f32 v47, v70, v31, -v150
	v_fmac_f32_e32 v156, v79, v33
	s_waitcnt lgkmcnt(9)
	v_mul_f32_e32 v70, v82, v36
	v_mul_f32_e32 v79, v81, v36
	v_fmac_f32_e32 v155, v69, v31
	v_fma_f32 v69, v80, v33, -v151
	v_fmac_f32_e32 v70, v81, v35
	v_fma_f32 v157, v82, v35, -v79
	global_load_dwordx4 v[79:82], v59, s[8:9] offset:448
	global_load_dwordx4 v[149:152], v59, s[8:9] offset:432
	s_waitcnt lgkmcnt(8)
	v_mul_f32_e32 v158, v86, v26
	v_mul_f32_e32 v26, v85, v26
	v_fmac_f32_e32 v158, v85, v25
	v_fma_f32 v59, v86, v25, -v26
	v_mul_f32_e32 v85, v40, v28
	v_mul_f32_e32 v25, v39, v28
	v_fmac_f32_e32 v85, v39, v27
	v_fma_f32 v39, v40, v27, -v25
	s_waitcnt lgkmcnt(7)
	v_mul_f32_e32 v40, v98, v30
	v_mul_f32_e32 v25, v97, v30
	v_fmac_f32_e32 v40, v97, v29
	v_fma_f32 v86, v98, v29, -v25
	v_mul_f32_e32 v97, v72, v32
	v_mul_f32_e32 v25, v71, v32
	v_fmac_f32_e32 v97, v71, v31
	v_fma_f32 v71, v72, v31, -v25
	;; [unrolled: 9-line block ×3, first 2 shown]
	s_waitcnt vmcnt(8)
	v_mul_f32_e32 v84, v88, v74
	v_mul_f32_e32 v25, v87, v74
	v_fmac_f32_e32 v84, v87, v73
	v_fma_f32 v73, v88, v73, -v25
	s_waitcnt lgkmcnt(5)
	v_mul_f32_e32 v74, v106, v76
	v_mul_f32_e32 v25, v105, v76
	v_fmac_f32_e32 v74, v105, v75
	v_fma_f32 v75, v106, v75, -v25
	s_waitcnt vmcnt(6)
	v_mul_f32_e32 v25, v99, v114
	v_mul_f32_e32 v76, v100, v114
	v_fma_f32 v87, v100, v113, -v25
	s_waitcnt lgkmcnt(4)
	v_mul_f32_e32 v25, v117, v116
	v_fmac_f32_e32 v76, v99, v113
	v_fma_f32 v99, v118, v115, -v25
	v_mul_f32_e32 v25, v103, v110
	v_fma_f32 v102, v104, v109, -v25
	s_waitcnt lgkmcnt(3)
	v_mul_f32_e32 v25, v121, v112
	v_mul_f32_e32 v100, v104, v110
	v_fma_f32 v104, v122, v111, -v25
	s_waitcnt vmcnt(4) lgkmcnt(2)
	v_mul_f32_e32 v25, v125, v142
	v_fmac_f32_e32 v100, v103, v109
	v_fma_f32 v106, v126, v141, -v25
	v_mul_f32_e32 v109, v108, v144
	v_mul_f32_e32 v25, v107, v144
	v_fmac_f32_e32 v109, v107, v143
	v_fma_f32 v107, v108, v143, -v25
	s_waitcnt lgkmcnt(1)
	v_mul_f32_e32 v25, v129, v138
	v_fma_f32 v110, v130, v137, -v25
	v_mul_f32_e32 v25, v119, v140
	v_mul_f32_e32 v103, v122, v112
	v_fma_f32 v112, v120, v139, -v25
	s_waitcnt vmcnt(3) lgkmcnt(0)
	v_mul_f32_e32 v25, v133, v146
	v_fma_f32 v114, v134, v145, -v25
	v_mul_f32_e32 v25, v123, v148
	v_mul_f32_e32 v88, v118, v116
	v_fma_f32 v116, v124, v147, -v25
	v_fmac_f32_e32 v103, v121, v111
	v_mul_f32_e32 v111, v120, v140
	v_fmac_f32_e32 v88, v117, v115
	v_mul_f32_e32 v115, v124, v148
	v_mul_f32_e32 v105, v126, v142
	v_add_f32_e32 v29, v57, v156
	v_fmac_f32_e32 v111, v119, v139
	v_add_f32_e32 v26, v53, v157
	s_waitcnt vmcnt(2)
	v_mul_f32_e32 v25, v127, v44
	v_fma_f32 v118, v128, v43, -v25
	v_mul_f32_e32 v25, v41, v46
	v_fma_f32 v120, v42, v45, -v25
	v_mul_f32_e32 v117, v128, v44
	v_mul_f32_e32 v119, v42, v46
	v_add_f32_e32 v30, v37, v69
	v_sub_f32_e32 v31, v57, v156
	v_sub_f32_e32 v32, v37, v69
	v_add_f32_e32 v33, v63, v155
	v_sub_f32_e32 v35, v155, v63
	s_waitcnt vmcnt(0)
	v_mul_f32_e32 v25, v131, v150
	v_fma_f32 v122, v132, v149, -v25
	v_mul_f32_e32 v25, v77, v152
	v_fma_f32 v124, v78, v151, -v25
	;; [unrolled: 2-line block ×4, first 2 shown]
	v_add_f32_e32 v25, v49, v70
	v_add_f32_e32 v37, v29, v25
	v_fmac_f32_e32 v117, v127, v43
	v_fmac_f32_e32 v119, v41, v45
	v_sub_f32_e32 v27, v49, v70
	v_add_f32_e32 v34, v38, v47
	v_sub_f32_e32 v36, v47, v38
	v_add_f32_e32 v38, v30, v26
	v_sub_f32_e32 v41, v29, v25
	v_sub_f32_e32 v43, v25, v33
	v_sub_f32_e32 v29, v33, v29
	v_add_f32_e32 v25, v35, v31
	v_add_f32_e32 v33, v33, v37
	v_sub_f32_e32 v28, v53, v157
	v_sub_f32_e32 v42, v30, v26
	;; [unrolled: 1-line block ×4, first 2 shown]
	v_add_f32_e32 v26, v36, v32
	v_sub_f32_e32 v45, v35, v31
	v_sub_f32_e32 v35, v27, v35
	;; [unrolled: 1-line block ×3, first 2 shown]
	v_add_f32_e32 v34, v34, v38
	v_add_f32_e32 v27, v25, v27
	v_add_f32_e32 v25, v65, v33
	v_sub_f32_e32 v46, v36, v32
	v_sub_f32_e32 v36, v28, v36
	;; [unrolled: 1-line block ×3, first 2 shown]
	v_add_f32_e32 v28, v26, v28
	v_add_f32_e32 v26, v66, v34
	v_mov_b32_e32 v53, v25
	v_mul_f32_e32 v37, 0x3f4a47b2, v43
	v_mul_f32_e32 v38, 0x3f4a47b2, v44
	;; [unrolled: 1-line block ×7, first 2 shown]
	v_fmac_f32_e32 v53, 0xbf955555, v33
	v_mov_b32_e32 v33, v26
	v_mul_f32_e32 v46, 0x3f08b237, v46
	v_fmac_f32_e32 v33, 0xbf955555, v34
	v_fma_f32 v34, v41, s4, -v43
	v_fma_f32 v43, v42, s4, -v44
	v_fma_f32 v41, v41, s3, -v37
	v_fmac_f32_e32 v37, 0x3d64c772, v29
	v_fma_f32 v29, v42, s3, -v38
	v_fmac_f32_e32 v38, 0x3d64c772, v30
	v_fma_f32 v42, v31, s2, -v45
	;; [unrolled: 2-line block ×3, first 2 shown]
	v_fma_f32 v35, v36, s5, -v49
	v_fma_f32 v44, v32, s2, -v46
	v_fmac_f32_e32 v46, 0xbeae86e6, v36
	v_add_f32_e32 v38, v38, v33
	v_add_f32_e32 v41, v41, v53
	v_fmac_f32_e32 v45, 0xbee1c552, v27
	v_fmac_f32_e32 v35, 0xbee1c552, v28
	v_add_f32_e32 v37, v37, v53
	v_add_f32_e32 v34, v34, v53
	;; [unrolled: 1-line block ×4, first 2 shown]
	v_fmac_f32_e32 v46, 0xbee1c552, v28
	v_fmac_f32_e32 v42, 0xbee1c552, v27
	;; [unrolled: 1-line block ×3, first 2 shown]
	v_sub_f32_e32 v28, v38, v45
	v_add_f32_e32 v29, v35, v41
	v_sub_f32_e32 v35, v41, v35
	v_add_f32_e32 v38, v45, v38
	v_add_f32_e32 v41, v158, v101
	;; [unrolled: 1-line block ×3, first 2 shown]
	v_fmac_f32_e32 v47, 0xbee1c552, v27
	v_add_f32_e32 v27, v46, v37
	v_sub_f32_e32 v31, v34, v44
	v_add_f32_e32 v32, v42, v36
	v_add_f32_e32 v33, v44, v34
	v_sub_f32_e32 v34, v36, v42
	v_sub_f32_e32 v37, v37, v46
	v_add_f32_e32 v42, v59, v83
	v_sub_f32_e32 v44, v59, v83
	v_add_f32_e32 v46, v39, v98
	v_add_f32_e32 v49, v40, v97
	;; [unrolled: 1-line block ×5, first 2 shown]
	v_sub_f32_e32 v65, v45, v41
	v_sub_f32_e32 v41, v41, v49
	;; [unrolled: 1-line block ×3, first 2 shown]
	v_add_f32_e32 v49, v49, v59
	v_fmac_f32_e32 v115, v123, v147
	v_mul_f32_e32 v123, v78, v152
	v_sub_f32_e32 v30, v43, v47
	v_add_f32_e32 v36, v47, v43
	v_sub_f32_e32 v47, v85, v72
	v_sub_f32_e32 v39, v39, v98
	;; [unrolled: 1-line block ×7, first 2 shown]
	v_add_f32_e32 v53, v53, v63
	v_add_f32_e32 v22, v22, v49
	v_fmac_f32_e32 v123, v77, v151
	v_sub_f32_e32 v43, v158, v101
	v_add_f32_e32 v69, v40, v47
	v_add_f32_e32 v70, v57, v39
	v_sub_f32_e32 v71, v40, v47
	v_sub_f32_e32 v72, v57, v39
	v_add_f32_e32 v23, v23, v53
	v_mov_b32_e32 v77, v22
	v_sub_f32_e32 v40, v43, v40
	v_sub_f32_e32 v57, v44, v57
	;; [unrolled: 1-line block ×4, first 2 shown]
	v_add_f32_e32 v43, v69, v43
	v_add_f32_e32 v44, v70, v44
	v_mul_f32_e32 v41, 0x3f4a47b2, v41
	v_mul_f32_e32 v42, 0x3f4a47b2, v42
	;; [unrolled: 1-line block ×6, first 2 shown]
	v_fmac_f32_e32 v77, 0xbf955555, v49
	v_mov_b32_e32 v49, v23
	v_mul_f32_e32 v71, 0xbf5ff5aa, v47
	v_mul_f32_e32 v72, 0xbf5ff5aa, v39
	v_fmac_f32_e32 v49, 0xbf955555, v53
	v_fma_f32 v53, v65, s4, -v59
	v_fma_f32 v59, v66, s4, -v63
	;; [unrolled: 1-line block ×3, first 2 shown]
	v_fmac_f32_e32 v41, 0x3d64c772, v45
	v_fma_f32 v45, v66, s3, -v42
	v_fmac_f32_e32 v42, 0x3d64c772, v46
	v_fma_f32 v46, v47, s2, -v70
	v_fma_f32 v47, v39, s2, -v69
	v_fmac_f32_e32 v70, 0xbeae86e6, v40
	v_fmac_f32_e32 v69, 0xbeae86e6, v57
	v_fma_f32 v66, v40, s5, -v71
	v_fma_f32 v57, v57, s5, -v72
	v_add_f32_e32 v53, v53, v77
	v_add_f32_e32 v59, v59, v49
	v_fmac_f32_e32 v46, 0xbee1c552, v43
	v_fmac_f32_e32 v47, 0xbee1c552, v44
	v_add_f32_e32 v72, v42, v49
	v_add_f32_e32 v63, v63, v77
	;; [unrolled: 1-line block ×3, first 2 shown]
	v_fmac_f32_e32 v70, 0xbee1c552, v43
	v_fmac_f32_e32 v69, 0xbee1c552, v44
	;; [unrolled: 1-line block ×4, first 2 shown]
	v_sub_f32_e32 v43, v53, v47
	v_add_f32_e32 v44, v46, v59
	v_add_f32_e32 v45, v47, v53
	v_sub_f32_e32 v46, v59, v46
	v_add_f32_e32 v47, v84, v103
	v_add_f32_e32 v59, v74, v100
	v_fmac_f32_e32 v105, v125, v141
	v_mul_f32_e32 v125, v136, v80
	v_add_f32_e32 v71, v41, v77
	v_add_f32_e32 v41, v57, v63
	v_sub_f32_e32 v42, v49, v66
	v_sub_f32_e32 v65, v63, v57
	v_add_f32_e32 v66, v66, v49
	v_add_f32_e32 v49, v73, v104
	v_sub_f32_e32 v57, v73, v104
	v_add_f32_e32 v63, v75, v102
	v_add_f32_e32 v73, v76, v88
	v_add_f32_e32 v77, v59, v47
	v_fmac_f32_e32 v125, v135, v79
	v_add_f32_e32 v39, v69, v71
	v_sub_f32_e32 v69, v71, v69
	v_sub_f32_e32 v71, v74, v100
	v_add_f32_e32 v74, v87, v99
	v_add_f32_e32 v78, v63, v49
	v_sub_f32_e32 v79, v59, v47
	v_sub_f32_e32 v47, v47, v73
	;; [unrolled: 1-line block ×3, first 2 shown]
	v_add_f32_e32 v73, v73, v77
	v_mul_f32_e32 v127, v154, v82
	v_sub_f32_e32 v40, v72, v70
	v_add_f32_e32 v70, v70, v72
	v_sub_f32_e32 v53, v84, v103
	v_sub_f32_e32 v72, v75, v102
	;; [unrolled: 1-line block ×7, first 2 shown]
	v_add_f32_e32 v74, v74, v78
	v_add_f32_e32 v4, v4, v73
	v_fmac_f32_e32 v127, v153, v81
	v_add_f32_e32 v81, v75, v71
	v_add_f32_e32 v82, v76, v72
	v_sub_f32_e32 v83, v75, v71
	v_sub_f32_e32 v84, v76, v72
	;; [unrolled: 1-line block ×3, first 2 shown]
	v_add_f32_e32 v5, v5, v74
	v_mov_b32_e32 v85, v4
	v_sub_f32_e32 v75, v53, v75
	v_sub_f32_e32 v76, v57, v76
	;; [unrolled: 1-line block ×3, first 2 shown]
	v_add_f32_e32 v53, v81, v53
	v_add_f32_e32 v57, v82, v57
	v_mul_f32_e32 v47, 0x3f4a47b2, v47
	v_mul_f32_e32 v49, 0x3f4a47b2, v49
	;; [unrolled: 1-line block ×7, first 2 shown]
	v_fmac_f32_e32 v85, 0xbf955555, v73
	v_mov_b32_e32 v73, v5
	v_mul_f32_e32 v113, v134, v146
	v_mul_f32_e32 v84, 0xbf5ff5aa, v72
	v_fmac_f32_e32 v73, 0xbf955555, v74
	v_fma_f32 v74, v79, s4, -v77
	v_fma_f32 v77, v80, s4, -v78
	;; [unrolled: 1-line block ×3, first 2 shown]
	v_fmac_f32_e32 v47, 0x3d64c772, v59
	v_fma_f32 v59, v80, s3, -v49
	v_fma_f32 v79, v72, s2, -v81
	v_fmac_f32_e32 v81, 0xbeae86e6, v76
	v_fma_f32 v80, v75, s5, -v83
	v_mul_f32_e32 v108, v130, v138
	v_fmac_f32_e32 v113, v133, v145
	v_fmac_f32_e32 v49, 0x3d64c772, v63
	v_fma_f32 v63, v71, s2, -v82
	v_fmac_f32_e32 v82, 0xbeae86e6, v75
	v_fma_f32 v83, v76, s5, -v84
	v_add_f32_e32 v47, v47, v85
	v_add_f32_e32 v59, v59, v73
	v_fmac_f32_e32 v81, 0xbee1c552, v57
	v_fmac_f32_e32 v80, 0xbee1c552, v53
	;; [unrolled: 1-line block ×3, first 2 shown]
	v_add_f32_e32 v49, v49, v73
	v_add_f32_e32 v84, v74, v85
	;; [unrolled: 1-line block ×4, first 2 shown]
	v_fmac_f32_e32 v82, 0xbee1c552, v53
	v_fmac_f32_e32 v63, 0xbee1c552, v53
	;; [unrolled: 1-line block ×4, first 2 shown]
	v_add_f32_e32 v71, v81, v47
	v_sub_f32_e32 v74, v59, v80
	v_add_f32_e32 v80, v80, v59
	v_sub_f32_e32 v81, v47, v81
	v_add_f32_e32 v47, v105, v115
	v_add_f32_e32 v59, v109, v113
	v_sub_f32_e32 v72, v49, v82
	v_add_f32_e32 v73, v83, v85
	v_sub_f32_e32 v75, v84, v79
	v_add_f32_e32 v76, v63, v86
	v_add_f32_e32 v77, v79, v84
	v_sub_f32_e32 v78, v86, v63
	v_sub_f32_e32 v79, v85, v83
	v_add_f32_e32 v82, v82, v49
	v_add_f32_e32 v49, v106, v116
	;; [unrolled: 1-line block ×7, first 2 shown]
	v_sub_f32_e32 v99, v59, v47
	v_sub_f32_e32 v47, v47, v85
	;; [unrolled: 1-line block ×3, first 2 shown]
	v_add_f32_e32 v85, v85, v97
	v_sub_f32_e32 v53, v105, v115
	v_sub_f32_e32 v83, v109, v113
	;; [unrolled: 1-line block ×8, first 2 shown]
	v_add_f32_e32 v86, v86, v98
	v_add_f32_e32 v2, v2, v85
	v_sub_f32_e32 v57, v106, v116
	v_add_f32_e32 v101, v87, v83
	v_add_f32_e32 v102, v88, v84
	v_sub_f32_e32 v103, v87, v83
	v_sub_f32_e32 v104, v88, v84
	;; [unrolled: 1-line block ×3, first 2 shown]
	v_add_f32_e32 v3, v3, v86
	v_mov_b32_e32 v105, v2
	v_sub_f32_e32 v87, v53, v87
	v_sub_f32_e32 v88, v57, v88
	;; [unrolled: 1-line block ×3, first 2 shown]
	v_add_f32_e32 v53, v101, v53
	v_add_f32_e32 v57, v102, v57
	v_mul_f32_e32 v47, 0x3f4a47b2, v47
	v_mul_f32_e32 v49, 0x3f4a47b2, v49
	;; [unrolled: 1-line block ×7, first 2 shown]
	v_fmac_f32_e32 v105, 0xbf955555, v85
	v_mov_b32_e32 v85, v3
	v_mul_f32_e32 v104, 0xbf5ff5aa, v84
	v_fmac_f32_e32 v85, 0xbf955555, v86
	v_fma_f32 v86, v99, s4, -v97
	v_fma_f32 v97, v100, s4, -v98
	;; [unrolled: 1-line block ×3, first 2 shown]
	v_fmac_f32_e32 v47, 0x3d64c772, v59
	v_fma_f32 v59, v100, s3, -v49
	v_fma_f32 v99, v84, s2, -v101
	v_fmac_f32_e32 v101, 0xbeae86e6, v88
	v_fma_f32 v100, v87, s5, -v103
	v_mul_f32_e32 v121, v132, v150
	v_fmac_f32_e32 v49, 0x3d64c772, v63
	v_fma_f32 v63, v83, s2, -v102
	v_fmac_f32_e32 v102, 0xbeae86e6, v87
	v_fma_f32 v103, v88, s5, -v104
	v_add_f32_e32 v47, v47, v105
	v_add_f32_e32 v59, v59, v85
	v_fmac_f32_e32 v101, 0xbee1c552, v57
	v_fmac_f32_e32 v100, 0xbee1c552, v53
	;; [unrolled: 1-line block ×3, first 2 shown]
	v_add_f32_e32 v49, v49, v85
	v_add_f32_e32 v104, v86, v105
	;; [unrolled: 1-line block ×4, first 2 shown]
	v_fmac_f32_e32 v102, 0xbee1c552, v53
	v_fmac_f32_e32 v63, 0xbee1c552, v53
	;; [unrolled: 1-line block ×4, first 2 shown]
	v_add_f32_e32 v83, v101, v47
	v_sub_f32_e32 v86, v59, v100
	v_add_f32_e32 v100, v100, v59
	v_sub_f32_e32 v101, v47, v101
	v_add_f32_e32 v47, v117, v127
	v_add_f32_e32 v59, v119, v125
	v_sub_f32_e32 v84, v49, v102
	v_add_f32_e32 v85, v103, v105
	v_sub_f32_e32 v87, v104, v99
	v_add_f32_e32 v88, v63, v106
	v_add_f32_e32 v97, v99, v104
	v_sub_f32_e32 v98, v106, v63
	v_sub_f32_e32 v99, v105, v103
	v_add_f32_e32 v102, v102, v49
	v_add_f32_e32 v49, v118, v128
	;; [unrolled: 1-line block ×5, first 2 shown]
	s_waitcnt lgkmcnt(0)
	; wave barrier
	ds_write2_b64 v89, v[25:26], v[27:28] offset1:56
	ds_write2_b64 v89, v[29:30], v[31:32] offset0:112 offset1:168
	v_add_u32_e32 v25, 0x400, v89
	v_add_f32_e32 v106, v122, v124
	v_add_f32_e32 v110, v63, v49
	v_sub_f32_e32 v111, v59, v47
	v_sub_f32_e32 v47, v47, v105
	;; [unrolled: 1-line block ×3, first 2 shown]
	v_add_f32_e32 v105, v105, v109
	ds_write2_b64 v25, v[33:34], v[35:36] offset0:96 offset1:152
	ds_write2_b64 v10, v[37:38], v[22:23] offset0:80 offset1:136
	ds_write_b64 v94, v[39:40]
	v_add_u32_e32 v10, 0xc00, v89
	v_add_u32_e32 v22, 0x1800, v14
	v_sub_f32_e32 v103, v119, v125
	v_sub_f32_e32 v104, v120, v126
	;; [unrolled: 1-line block ×7, first 2 shown]
	v_add_f32_e32 v106, v106, v110
	v_add_f32_e32 v0, v0, v105
	ds_write2_b64 v10, v[41:42], v[43:44] offset0:120 offset1:176
	ds_write2_b64 v6, v[45:46], v[65:66] offset0:104 offset1:160
	ds_write_b64 v89, v[69:70] offset:5824
	ds_write2_b64 v22, v[4:5], v[71:72] offset0:16 offset1:72
	ds_write2_b64 v22, v[73:74], v[75:76] offset0:128 offset1:184
	v_add_u32_e32 v4, 0x1c00, v14
	v_sub_f32_e32 v53, v117, v127
	v_sub_f32_e32 v57, v118, v128
	v_add_f32_e32 v113, v107, v103
	v_add_f32_e32 v114, v108, v104
	v_sub_f32_e32 v115, v107, v103
	v_sub_f32_e32 v116, v108, v104
	v_add_f32_e32 v1, v1, v106
	v_mov_b32_e32 v117, v0
	ds_write2_b64 v4, v[77:78], v[79:80] offset0:112 offset1:168
	ds_write_b64 v14, v[81:82] offset:8960
	v_lshl_add_u32 v4, v15, 3, 0
	v_sub_f32_e32 v107, v53, v107
	v_sub_f32_e32 v108, v57, v108
	;; [unrolled: 1-line block ×4, first 2 shown]
	v_add_f32_e32 v53, v113, v53
	v_add_f32_e32 v57, v114, v57
	v_mul_f32_e32 v47, 0x3f4a47b2, v47
	v_mul_f32_e32 v49, 0x3f4a47b2, v49
	v_mul_f32_e32 v109, 0x3d64c772, v59
	v_mul_f32_e32 v110, 0x3d64c772, v63
	v_mul_f32_e32 v114, 0x3f08b237, v115
	v_mul_f32_e32 v113, 0x3f08b237, v116
	v_fmac_f32_e32 v117, 0xbf955555, v105
	v_mov_b32_e32 v105, v1
	v_add_u32_e32 v5, 0x2000, v4
	v_mul_f32_e32 v115, 0xbf5ff5aa, v103
	v_mul_f32_e32 v116, 0xbf5ff5aa, v104
	v_fmac_f32_e32 v105, 0xbf955555, v106
	v_fma_f32 v106, v111, s4, -v109
	v_fma_f32 v109, v112, s4, -v110
	;; [unrolled: 1-line block ×3, first 2 shown]
	v_fmac_f32_e32 v47, 0x3d64c772, v59
	v_fma_f32 v59, v112, s3, -v49
	v_fmac_f32_e32 v49, 0x3d64c772, v63
	v_fma_f32 v63, v103, s2, -v114
	;; [unrolled: 2-line block ×3, first 2 shown]
	v_fmac_f32_e32 v113, 0xbeae86e6, v108
	ds_write2_b64 v5, v[2:3], v[83:84] offset0:152 offset1:208
	v_add_u32_e32 v2, 0x2800, v4
	v_fma_f32 v112, v107, s5, -v115
	v_fma_f32 v115, v108, s5, -v116
	v_add_f32_e32 v47, v47, v117
	v_add_f32_e32 v49, v49, v105
	v_fmac_f32_e32 v114, 0xbee1c552, v53
	v_fmac_f32_e32 v113, 0xbee1c552, v57
	ds_write2_b64 v2, v[85:86], v[87:88] offset0:8 offset1:64
	ds_write2_b64 v2, v[97:98], v[99:100] offset0:120 offset1:176
	ds_write_b64 v4, v[101:102] offset:12096
	v_lshl_add_u32 v2, v11, 3, 0
	v_add_f32_e32 v116, v106, v117
	v_add_f32_e32 v118, v109, v105
	;; [unrolled: 1-line block ×4, first 2 shown]
	v_fmac_f32_e32 v63, 0xbee1c552, v53
	v_fmac_f32_e32 v111, 0xbee1c552, v57
	;; [unrolled: 1-line block ×4, first 2 shown]
	v_add_f32_e32 v103, v113, v47
	v_sub_f32_e32 v104, v49, v114
	v_add_u32_e32 v3, 0x3000, v2
	v_add_f32_e32 v105, v115, v117
	v_sub_f32_e32 v106, v59, v112
	v_sub_f32_e32 v107, v116, v111
	v_add_f32_e32 v108, v63, v118
	v_add_f32_e32 v109, v111, v116
	v_sub_f32_e32 v110, v118, v63
	v_sub_f32_e32 v111, v117, v115
	v_add_f32_e32 v112, v112, v59
	ds_write2_b64 v3, v[0:1], v[103:104] offset0:32 offset1:88
	ds_write2_b64 v3, v[105:106], v[107:108] offset0:144 offset1:200
	v_add_u32_e32 v0, 0x3800, v2
	v_mov_b32_e32 v22, v68
	v_sub_f32_e32 v113, v47, v113
	v_add_f32_e32 v114, v114, v49
	ds_write2_b64 v0, v[109:110], v[111:112] offset1:56
	ds_write_b64 v2, v[113:114] offset:15232
	v_lshlrev_b64 v[0:1], 3, v[21:22]
	v_mov_b32_e32 v47, s9
	v_add_co_u32_e64 v0, s[2:3], s8, v0
	v_addc_co_u32_e64 v1, s[2:3], v47, v1, s[2:3]
	s_waitcnt lgkmcnt(0)
	; wave barrier
	s_waitcnt lgkmcnt(0)
	global_load_dwordx4 v[25:28], v[0:1], off offset:3104
	global_load_dwordx4 v[29:32], v[0:1], off offset:3120
	v_mov_b32_e32 v21, v68
	v_lshlrev_b64 v[0:1], 3, v[20:21]
	v_mov_b32_e32 v20, v68
	v_add_co_u32_e64 v0, s[2:3], s8, v0
	v_addc_co_u32_e64 v1, s[2:3], v47, v1, s[2:3]
	global_load_dwordx4 v[33:36], v[0:1], off offset:3104
	global_load_dwordx4 v[37:40], v[0:1], off offset:3120
	v_add_u32_e32 v0, 0x1400, v89
	ds_read2st64_b64 v[41:44], v89 offset1:7
	ds_read2_b64 v[69:72], v0 offset0:88 offset1:144
	ds_read2_b64 v[73:76], v12 offset0:152 offset1:208
	v_add_u32_e32 v0, 0x2c00, v89
	ds_read2_b64 v[77:80], v0 offset0:104 offset1:160
	ds_read2_b64 v[81:84], v8 offset0:72 offset1:128
	;; [unrolled: 1-line block ×4, first 2 shown]
	v_lshlrev_b64 v[0:1], 3, v[19:20]
	v_mov_b32_e32 v19, v68
	v_add_co_u32_e64 v0, s[2:3], s8, v0
	v_lshlrev_b64 v[2:3], 3, v[18:19]
	v_addc_co_u32_e64 v1, s[2:3], v47, v1, s[2:3]
	v_mov_b32_e32 v18, v68
	v_add_co_u32_e64 v2, s[2:3], s8, v2
	v_lshlrev_b64 v[17:18], 3, v[17:18]
	global_load_dwordx4 v[20:23], v[0:1], off offset:3120
	global_load_dwordx4 v[101:104], v[0:1], off offset:3104
	v_addc_co_u32_e64 v3, s[2:3], v47, v3, s[2:3]
	v_add_u32_e32 v0, 0x3400, v89
	v_add_co_u32_e64 v17, s[2:3], s8, v17
	ds_read2_b64 v[105:108], v7 offset0:8 offset1:64
	ds_read2_b64 v[109:112], v8 offset0:184 offset1:240
	;; [unrolled: 1-line block ×3, first 2 shown]
	ds_read_b64 v[10:11], v93
	ds_read_b64 v[8:9], v92
	;; [unrolled: 1-line block ×4, first 2 shown]
	global_load_dwordx4 v[117:120], v[2:3], off offset:3120
	global_load_dwordx4 v[121:124], v[2:3], off offset:3104
	ds_read2_b64 v[125:128], v6 offset0:104 offset1:160
	ds_read2_b64 v[129:132], v7 offset0:120 offset1:176
	ds_read_b64 v[45:46], v95
	ds_read_b64 v[6:7], v24
	ds_read2_b64 v[133:136], v12 offset0:40 offset1:96
	ds_read2_b64 v[12:15], v13 offset0:56 offset1:112
	ds_read_b64 v[2:3], v96
	v_addc_co_u32_e64 v18, s[2:3], v47, v18, s[2:3]
	global_load_dwordx4 v[137:140], v[17:18], off offset:3120
	global_load_dwordx4 v[141:144], v[17:18], off offset:3104
	s_waitcnt vmcnt(9) lgkmcnt(4)
	v_mul_f32_e32 v49, v26, v46
	v_mul_f32_e32 v17, v26, v45
	v_fmac_f32_e32 v49, v25, v45
	v_fma_f32 v45, v25, v46, -v17
	v_mul_f32_e32 v17, v28, v71
	v_fma_f32 v53, v27, v72, -v17
	v_mov_b32_e32 v17, v68
	s_waitcnt vmcnt(8)
	v_mul_f32_e32 v57, v74, v30
	v_lshlrev_b64 v[16:17], 3, v[16:17]
	v_mul_f32_e32 v30, v73, v30
	v_fmac_f32_e32 v57, v73, v29
	v_fma_f32 v59, v74, v29, -v30
	v_mul_f32_e32 v63, v80, v32
	v_mul_f32_e32 v29, v79, v32
	v_add_co_u32_e64 v25, s[2:3], s8, v16
	v_fmac_f32_e32 v63, v79, v31
	v_fma_f32 v79, v80, v31, -v29
	v_lshlrev_b64 v[29:30], 3, v[67:68]
	v_addc_co_u32_e64 v26, s[2:3], v47, v17, s[2:3]
	v_mul_f32_e32 v46, v28, v72
	v_add_co_u32_e64 v29, s[2:3], s8, v29
	v_fmac_f32_e32 v46, v27, v71
	global_load_dwordx4 v[16:19], v[25:26], off offset:3120
	s_nop 0
	global_load_dwordx4 v[25:28], v[25:26], off offset:3104
	v_addc_co_u32_e64 v30, s[2:3], v47, v30, s[2:3]
	global_load_dwordx4 v[65:68], v[29:30], off offset:3120
	global_load_dwordx4 v[71:74], v[29:30], off offset:3104
	s_waitcnt vmcnt(11)
	v_mul_f32_e32 v80, v44, v34
	v_mul_f32_e32 v29, v43, v34
	v_fmac_f32_e32 v80, v43, v33
	v_fma_f32 v43, v44, v33, -v29
	v_mul_f32_e32 v44, v82, v36
	v_mul_f32_e32 v29, v81, v36
	v_fmac_f32_e32 v44, v81, v35
	v_fma_f32 v47, v82, v35, -v29
	s_waitcnt vmcnt(10)
	v_mul_f32_e32 v81, v76, v38
	v_mul_f32_e32 v29, v75, v38
	v_fmac_f32_e32 v81, v75, v37
	v_fma_f32 v75, v76, v37, -v29
	v_mul_f32_e32 v36, v86, v40
	v_mul_f32_e32 v29, v85, v40
	v_fmac_f32_e32 v36, v85, v39
	v_fma_f32 v39, v86, v39, -v29
	s_waitcnt vmcnt(8)
	v_mul_f32_e32 v29, v97, v102
	v_fma_f32 v82, v98, v101, -v29
	v_mul_f32_e32 v85, v84, v104
	v_mul_f32_e32 v29, v83, v104
	v_mul_f32_e32 v76, v98, v102
	v_fmac_f32_e32 v85, v83, v103
	v_fma_f32 v83, v84, v103, -v29
	v_mul_f32_e32 v84, v106, v21
	v_mul_f32_e32 v21, v105, v21
	v_fmac_f32_e32 v76, v97, v101
	v_fmac_f32_e32 v84, v105, v20
	v_fma_f32 v86, v106, v20, -v21
	v_mul_f32_e32 v97, v88, v23
	v_mul_f32_e32 v20, v87, v23
	v_fmac_f32_e32 v97, v87, v22
	v_fma_f32 v87, v88, v22, -v20
	s_waitcnt vmcnt(6)
	v_mul_f32_e32 v20, v99, v122
	v_fma_f32 v98, v100, v121, -v20
	v_mul_f32_e32 v20, v109, v124
	v_mul_f32_e32 v88, v100, v122
	v_fma_f32 v100, v110, v123, -v20
	v_mul_f32_e32 v20, v107, v118
	v_fma_f32 v102, v108, v117, -v20
	;; [unrolled: 2-line block ×3, first 2 shown]
	s_waitcnt vmcnt(4)
	v_mul_f32_e32 v20, v125, v142
	v_mul_f32_e32 v103, v114, v120
	v_fma_f32 v106, v126, v141, -v20
	v_mul_f32_e32 v20, v111, v144
	v_mul_f32_e32 v101, v108, v118
	v_fmac_f32_e32 v103, v113, v119
	v_fma_f32 v108, v112, v143, -v20
	v_mul_f32_e32 v20, v129, v138
	v_fmac_f32_e32 v88, v99, v121
	v_mul_f32_e32 v99, v110, v124
	v_fma_f32 v110, v130, v137, -v20
	v_mul_f32_e32 v20, v115, v140
	v_fmac_f32_e32 v101, v107, v117
	v_mul_f32_e32 v107, v112, v144
	v_fma_f32 v112, v116, v139, -v20
	v_fmac_f32_e32 v107, v111, v143
	v_mul_f32_e32 v111, v116, v140
	v_fmac_f32_e32 v111, v115, v139
	v_sub_f32_e32 v22, v49, v63
	v_sub_f32_e32 v23, v46, v57
	;; [unrolled: 1-line block ×5, first 2 shown]
	v_add_f32_e32 v33, v33, v34
	v_sub_f32_e32 v34, v47, v75
	v_sub_f32_e32 v37, v80, v44
	;; [unrolled: 1-line block ×3, first 2 shown]
	v_add_f32_e32 v37, v37, v38
	v_sub_f32_e32 v38, v44, v80
	v_sub_f32_e32 v40, v81, v36
	v_add_f32_e32 v38, v38, v40
	v_sub_f32_e32 v40, v80, v36
	v_fmac_f32_e32 v99, v109, v123
	v_mul_f32_e32 v105, v126, v142
	s_waitcnt vmcnt(3) lgkmcnt(1)
	v_mul_f32_e32 v119, v13, v19
	v_fmac_f32_e32 v119, v12, v18
	v_mul_f32_e32 v12, v12, v19
	s_waitcnt vmcnt(2)
	v_mul_f32_e32 v113, v128, v26
	v_mul_f32_e32 v20, v127, v26
	v_fma_f32 v120, v13, v18, -v12
	s_waitcnt vmcnt(0)
	v_mul_f32_e32 v12, v69, v72
	v_fmac_f32_e32 v113, v127, v25
	v_fma_f32 v114, v128, v25, -v20
	v_fma_f32 v25, v70, v71, -v12
	v_mul_f32_e32 v12, v135, v74
	v_mul_f32_e32 v115, v134, v28
	;; [unrolled: 1-line block ×3, first 2 shown]
	v_fma_f32 v26, v136, v73, -v12
	v_mul_f32_e32 v12, v77, v66
	v_fmac_f32_e32 v115, v133, v27
	v_fma_f32 v116, v134, v27, -v20
	v_fma_f32 v27, v78, v65, -v12
	v_mul_f32_e32 v12, v14, v68
	v_fma_f32 v28, v15, v67, -v12
	v_add_f32_e32 v12, v41, v49
	v_add_f32_e32 v12, v12, v46
	v_mul_f32_e32 v32, v15, v68
	v_add_f32_e32 v12, v12, v57
	v_fmac_f32_e32 v32, v14, v67
	v_add_f32_e32 v14, v12, v63
	v_add_f32_e32 v12, v46, v57
	v_mul_f32_e32 v117, v132, v17
	v_mul_f32_e32 v17, v131, v17
	v_fma_f32 v12, -0.5, v12, v41
	v_fmac_f32_e32 v117, v131, v16
	v_fma_f32 v118, v132, v16, -v17
	v_sub_f32_e32 v13, v45, v79
	v_mov_b32_e32 v16, v12
	v_fmac_f32_e32 v16, 0xbf737871, v13
	v_sub_f32_e32 v15, v53, v59
	v_sub_f32_e32 v17, v49, v46
	v_sub_f32_e32 v18, v63, v57
	v_fmac_f32_e32 v12, 0x3f737871, v13
	v_fmac_f32_e32 v16, 0xbf167918, v15
	v_add_f32_e32 v17, v17, v18
	v_fmac_f32_e32 v12, 0x3f167918, v15
	v_fmac_f32_e32 v16, 0x3e9e377a, v17
	;; [unrolled: 1-line block ×3, first 2 shown]
	v_add_f32_e32 v17, v49, v63
	v_fma_f32 v18, -0.5, v17, v41
	v_mov_b32_e32 v20, v18
	v_fmac_f32_e32 v20, 0x3f737871, v15
	v_fmac_f32_e32 v18, 0xbf737871, v15
	;; [unrolled: 1-line block ×4, first 2 shown]
	v_add_f32_e32 v13, v42, v45
	v_add_f32_e32 v13, v13, v53
	;; [unrolled: 1-line block ×3, first 2 shown]
	v_sub_f32_e32 v17, v46, v49
	v_sub_f32_e32 v19, v57, v63
	v_add_f32_e32 v15, v13, v79
	v_add_f32_e32 v13, v53, v59
	;; [unrolled: 1-line block ×3, first 2 shown]
	v_fma_f32 v13, -0.5, v13, v42
	v_fmac_f32_e32 v20, 0x3e9e377a, v17
	v_fmac_f32_e32 v18, 0x3e9e377a, v17
	v_mov_b32_e32 v17, v13
	v_fmac_f32_e32 v17, 0x3f737871, v22
	v_sub_f32_e32 v19, v45, v53
	v_fmac_f32_e32 v13, 0xbf737871, v22
	v_fmac_f32_e32 v17, 0x3f167918, v23
	v_add_f32_e32 v19, v19, v21
	v_fmac_f32_e32 v13, 0xbf167918, v23
	v_fmac_f32_e32 v17, 0x3e9e377a, v19
	;; [unrolled: 1-line block ×3, first 2 shown]
	v_add_f32_e32 v19, v45, v79
	v_fma_f32 v19, -0.5, v19, v42
	v_mov_b32_e32 v21, v19
	v_fmac_f32_e32 v21, 0xbf737871, v23
	v_fmac_f32_e32 v19, 0x3f737871, v23
	;; [unrolled: 1-line block ×4, first 2 shown]
	v_add_f32_e32 v22, v10, v80
	v_add_f32_e32 v22, v22, v44
	;; [unrolled: 1-line block ×3, first 2 shown]
	v_fmac_f32_e32 v21, 0x3e9e377a, v33
	v_fmac_f32_e32 v19, 0x3e9e377a, v33
	v_add_f32_e32 v33, v22, v36
	v_add_f32_e32 v22, v44, v81
	v_fma_f32 v22, -0.5, v22, v10
	v_sub_f32_e32 v23, v43, v39
	v_mov_b32_e32 v35, v22
	v_fmac_f32_e32 v35, 0xbf737871, v23
	v_fmac_f32_e32 v22, 0x3f737871, v23
	;; [unrolled: 1-line block ×6, first 2 shown]
	v_add_f32_e32 v37, v80, v36
	v_fma_f32 v10, -0.5, v37, v10
	v_mov_b32_e32 v37, v10
	v_fmac_f32_e32 v37, 0x3f737871, v34
	v_fmac_f32_e32 v10, 0xbf737871, v34
	;; [unrolled: 1-line block ×4, first 2 shown]
	v_add_f32_e32 v23, v11, v43
	v_add_f32_e32 v23, v23, v47
	;; [unrolled: 1-line block ×5, first 2 shown]
	v_fma_f32 v23, -0.5, v23, v11
	v_mov_b32_e32 v36, v23
	v_fmac_f32_e32 v37, 0x3e9e377a, v38
	v_fmac_f32_e32 v10, 0x3e9e377a, v38
	;; [unrolled: 1-line block ×3, first 2 shown]
	v_sub_f32_e32 v41, v44, v81
	v_sub_f32_e32 v38, v43, v47
	;; [unrolled: 1-line block ×3, first 2 shown]
	v_fmac_f32_e32 v23, 0xbf737871, v40
	v_fmac_f32_e32 v36, 0x3f167918, v41
	v_add_f32_e32 v38, v38, v42
	v_fmac_f32_e32 v23, 0xbf167918, v41
	v_fmac_f32_e32 v36, 0x3e9e377a, v38
	;; [unrolled: 1-line block ×3, first 2 shown]
	v_add_f32_e32 v38, v43, v39
	v_fmac_f32_e32 v11, -0.5, v38
	v_mov_b32_e32 v38, v11
	v_fmac_f32_e32 v38, 0xbf737871, v41
	v_fmac_f32_e32 v11, 0x3f737871, v41
	;; [unrolled: 1-line block ×4, first 2 shown]
	v_add_f32_e32 v40, v85, v84
	v_fma_f32 v41, -0.5, v40, v8
	v_sub_f32_e32 v42, v47, v43
	v_sub_f32_e32 v39, v75, v39
	;; [unrolled: 1-line block ×3, first 2 shown]
	v_mov_b32_e32 v43, v41
	v_add_f32_e32 v39, v42, v39
	v_fmac_f32_e32 v43, 0xbf737871, v40
	v_sub_f32_e32 v42, v83, v86
	v_sub_f32_e32 v44, v76, v85
	v_sub_f32_e32 v45, v97, v84
	v_fmac_f32_e32 v41, 0x3f737871, v40
	v_fmac_f32_e32 v43, 0xbf167918, v42
	v_add_f32_e32 v44, v44, v45
	v_fmac_f32_e32 v41, 0x3f167918, v42
	v_fmac_f32_e32 v43, 0x3e9e377a, v44
	;; [unrolled: 1-line block ×3, first 2 shown]
	v_add_f32_e32 v44, v76, v97
	v_fmac_f32_e32 v38, 0x3e9e377a, v39
	v_fmac_f32_e32 v11, 0x3e9e377a, v39
	v_add_f32_e32 v39, v8, v76
	v_fma_f32 v8, -0.5, v44, v8
	v_mov_b32_e32 v45, v8
	v_fmac_f32_e32 v45, 0x3f737871, v42
	v_sub_f32_e32 v44, v85, v76
	v_sub_f32_e32 v46, v84, v97
	v_fmac_f32_e32 v8, 0xbf737871, v42
	v_add_f32_e32 v42, v83, v86
	v_fmac_f32_e32 v45, 0xbf167918, v40
	v_add_f32_e32 v44, v44, v46
	v_fmac_f32_e32 v8, 0x3f167918, v40
	v_fma_f32 v42, -0.5, v42, v9
	v_fmac_f32_e32 v45, 0x3e9e377a, v44
	v_fmac_f32_e32 v8, 0x3e9e377a, v44
	v_sub_f32_e32 v47, v76, v97
	v_mov_b32_e32 v44, v42
	v_fmac_f32_e32 v44, 0x3f737871, v47
	v_sub_f32_e32 v49, v85, v84
	v_sub_f32_e32 v46, v82, v83
	;; [unrolled: 1-line block ×3, first 2 shown]
	v_fmac_f32_e32 v42, 0xbf737871, v47
	v_fmac_f32_e32 v44, 0x3f167918, v49
	v_add_f32_e32 v46, v46, v53
	v_fmac_f32_e32 v42, 0xbf167918, v49
	v_fmac_f32_e32 v44, 0x3e9e377a, v46
	;; [unrolled: 1-line block ×3, first 2 shown]
	v_add_f32_e32 v46, v82, v87
	v_add_f32_e32 v40, v9, v82
	v_fmac_f32_e32 v9, -0.5, v46
	v_mov_b32_e32 v46, v9
	v_fmac_f32_e32 v46, 0xbf737871, v49
	v_fmac_f32_e32 v9, 0x3f737871, v49
	;; [unrolled: 1-line block ×4, first 2 shown]
	v_add_f32_e32 v47, v4, v88
	v_add_f32_e32 v47, v47, v99
	v_mul_f32_e32 v31, v78, v66
	v_add_f32_e32 v47, v47, v101
	v_fmac_f32_e32 v31, v77, v65
	v_add_f32_e32 v65, v47, v103
	v_add_f32_e32 v47, v99, v101
	v_mul_f32_e32 v29, v70, v72
	v_sub_f32_e32 v53, v83, v82
	v_sub_f32_e32 v57, v86, v87
	v_fma_f32 v67, -0.5, v47, v4
	v_fmac_f32_e32 v29, v69, v71
	v_add_f32_e32 v53, v53, v57
	v_sub_f32_e32 v47, v98, v104
	v_mov_b32_e32 v69, v67
	v_fmac_f32_e32 v46, 0x3e9e377a, v53
	v_fmac_f32_e32 v9, 0x3e9e377a, v53
	;; [unrolled: 1-line block ×3, first 2 shown]
	v_sub_f32_e32 v49, v100, v102
	v_sub_f32_e32 v53, v88, v99
	;; [unrolled: 1-line block ×3, first 2 shown]
	v_fmac_f32_e32 v67, 0x3f737871, v47
	v_fmac_f32_e32 v69, 0xbf167918, v49
	v_add_f32_e32 v53, v53, v57
	v_fmac_f32_e32 v67, 0x3f167918, v49
	v_fmac_f32_e32 v69, 0x3e9e377a, v53
	v_fmac_f32_e32 v67, 0x3e9e377a, v53
	v_add_f32_e32 v53, v88, v103
	v_fma_f32 v4, -0.5, v53, v4
	v_mov_b32_e32 v71, v4
	v_fmac_f32_e32 v71, 0x3f737871, v49
	v_fmac_f32_e32 v4, 0xbf737871, v49
	;; [unrolled: 1-line block ×4, first 2 shown]
	v_add_f32_e32 v47, v5, v98
	v_add_f32_e32 v47, v47, v100
	;; [unrolled: 1-line block ×5, first 2 shown]
	v_sub_f32_e32 v53, v99, v88
	v_sub_f32_e32 v57, v101, v103
	v_fma_f32 v68, -0.5, v47, v5
	v_add_f32_e32 v53, v53, v57
	v_sub_f32_e32 v47, v88, v103
	v_mov_b32_e32 v70, v68
	v_fmac_f32_e32 v71, 0x3e9e377a, v53
	v_fmac_f32_e32 v4, 0x3e9e377a, v53
	;; [unrolled: 1-line block ×3, first 2 shown]
	v_sub_f32_e32 v49, v99, v101
	v_sub_f32_e32 v53, v98, v100
	v_sub_f32_e32 v57, v104, v102
	v_fmac_f32_e32 v68, 0xbf737871, v47
	v_fmac_f32_e32 v70, 0x3f167918, v49
	v_add_f32_e32 v53, v53, v57
	v_fmac_f32_e32 v68, 0xbf167918, v49
	v_fmac_f32_e32 v70, 0x3e9e377a, v53
	;; [unrolled: 1-line block ×3, first 2 shown]
	v_add_f32_e32 v53, v98, v104
	v_fmac_f32_e32 v5, -0.5, v53
	v_mov_b32_e32 v72, v5
	v_fmac_f32_e32 v105, v125, v141
	v_fmac_f32_e32 v72, 0xbf737871, v49
	;; [unrolled: 1-line block ×3, first 2 shown]
	v_mul_f32_e32 v109, v130, v138
	v_fmac_f32_e32 v72, 0x3f167918, v47
	v_fmac_f32_e32 v5, 0xbf167918, v47
	v_add_f32_e32 v47, v0, v105
	v_fmac_f32_e32 v109, v129, v137
	v_add_f32_e32 v47, v47, v107
	v_mul_f32_e32 v30, v136, v74
	v_add_f32_e32 v47, v47, v109
	v_fmac_f32_e32 v30, v135, v73
	v_add_f32_e32 v73, v47, v111
	v_add_f32_e32 v47, v107, v109
	v_sub_f32_e32 v53, v100, v98
	v_sub_f32_e32 v57, v102, v104
	v_fma_f32 v75, -0.5, v47, v0
	v_add_f32_e32 v53, v53, v57
	v_sub_f32_e32 v47, v106, v112
	v_mov_b32_e32 v77, v75
	v_fmac_f32_e32 v72, 0x3e9e377a, v53
	v_fmac_f32_e32 v5, 0x3e9e377a, v53
	;; [unrolled: 1-line block ×3, first 2 shown]
	v_sub_f32_e32 v49, v108, v110
	v_sub_f32_e32 v53, v105, v107
	;; [unrolled: 1-line block ×3, first 2 shown]
	v_fmac_f32_e32 v75, 0x3f737871, v47
	v_fmac_f32_e32 v77, 0xbf167918, v49
	v_add_f32_e32 v53, v53, v57
	v_fmac_f32_e32 v75, 0x3f167918, v49
	v_fmac_f32_e32 v77, 0x3e9e377a, v53
	;; [unrolled: 1-line block ×3, first 2 shown]
	v_add_f32_e32 v53, v105, v111
	v_fma_f32 v0, -0.5, v53, v0
	v_mov_b32_e32 v79, v0
	v_fmac_f32_e32 v79, 0x3f737871, v49
	v_fmac_f32_e32 v0, 0xbf737871, v49
	;; [unrolled: 1-line block ×4, first 2 shown]
	v_add_f32_e32 v47, v1, v106
	v_add_f32_e32 v47, v47, v108
	v_add_f32_e32 v47, v47, v110
	v_add_f32_e32 v74, v47, v112
	v_add_f32_e32 v47, v108, v110
	v_sub_f32_e32 v53, v107, v105
	v_sub_f32_e32 v57, v109, v111
	v_fma_f32 v76, -0.5, v47, v1
	v_add_f32_e32 v53, v53, v57
	v_sub_f32_e32 v47, v105, v111
	v_mov_b32_e32 v78, v76
	v_fmac_f32_e32 v79, 0x3e9e377a, v53
	v_fmac_f32_e32 v0, 0x3e9e377a, v53
	;; [unrolled: 1-line block ×3, first 2 shown]
	v_sub_f32_e32 v49, v107, v109
	v_sub_f32_e32 v53, v106, v108
	;; [unrolled: 1-line block ×3, first 2 shown]
	v_fmac_f32_e32 v76, 0xbf737871, v47
	v_fmac_f32_e32 v78, 0x3f167918, v49
	v_add_f32_e32 v53, v53, v57
	v_fmac_f32_e32 v76, 0xbf167918, v49
	v_fmac_f32_e32 v78, 0x3e9e377a, v53
	;; [unrolled: 1-line block ×3, first 2 shown]
	v_add_f32_e32 v53, v106, v112
	v_fmac_f32_e32 v1, -0.5, v53
	v_mov_b32_e32 v80, v1
	v_fmac_f32_e32 v80, 0xbf737871, v49
	v_fmac_f32_e32 v1, 0x3f737871, v49
	;; [unrolled: 1-line block ×4, first 2 shown]
	v_add_f32_e32 v47, v6, v113
	v_add_f32_e32 v47, v47, v115
	;; [unrolled: 1-line block ×6, first 2 shown]
	v_sub_f32_e32 v53, v108, v106
	v_sub_f32_e32 v57, v110, v112
	v_fma_f32 v83, -0.5, v47, v6
	v_add_f32_e32 v39, v39, v85
	v_add_f32_e32 v53, v53, v57
	v_sub_f32_e32 v47, v114, v120
	v_mov_b32_e32 v85, v83
	v_fmac_f32_e32 v80, 0x3e9e377a, v53
	v_fmac_f32_e32 v1, 0x3e9e377a, v53
	;; [unrolled: 1-line block ×3, first 2 shown]
	v_sub_f32_e32 v49, v116, v118
	v_sub_f32_e32 v53, v113, v115
	;; [unrolled: 1-line block ×3, first 2 shown]
	v_fmac_f32_e32 v83, 0x3f737871, v47
	v_fmac_f32_e32 v85, 0xbf167918, v49
	v_add_f32_e32 v53, v53, v57
	v_fmac_f32_e32 v83, 0x3f167918, v49
	v_fmac_f32_e32 v85, 0x3e9e377a, v53
	;; [unrolled: 1-line block ×3, first 2 shown]
	v_add_f32_e32 v53, v113, v119
	v_add_f32_e32 v40, v40, v86
	v_fma_f32 v6, -0.5, v53, v6
	v_add_f32_e32 v40, v40, v87
	v_mov_b32_e32 v87, v6
	v_fmac_f32_e32 v87, 0x3f737871, v49
	v_fmac_f32_e32 v6, 0xbf737871, v49
	;; [unrolled: 1-line block ×4, first 2 shown]
	v_add_f32_e32 v47, v7, v114
	v_add_f32_e32 v47, v47, v116
	;; [unrolled: 1-line block ×6, first 2 shown]
	v_sub_f32_e32 v53, v115, v113
	v_sub_f32_e32 v57, v117, v119
	v_fma_f32 v84, -0.5, v47, v7
	v_add_f32_e32 v53, v53, v57
	v_sub_f32_e32 v47, v113, v119
	v_mov_b32_e32 v86, v84
	v_fmac_f32_e32 v87, 0x3e9e377a, v53
	v_fmac_f32_e32 v6, 0x3e9e377a, v53
	;; [unrolled: 1-line block ×3, first 2 shown]
	v_sub_f32_e32 v49, v115, v117
	v_sub_f32_e32 v53, v114, v116
	;; [unrolled: 1-line block ×3, first 2 shown]
	v_fmac_f32_e32 v84, 0xbf737871, v47
	v_fmac_f32_e32 v86, 0x3f167918, v49
	v_add_f32_e32 v53, v53, v57
	v_fmac_f32_e32 v84, 0xbf167918, v49
	v_fmac_f32_e32 v86, 0x3e9e377a, v53
	;; [unrolled: 1-line block ×3, first 2 shown]
	v_add_f32_e32 v53, v114, v120
	v_fmac_f32_e32 v7, -0.5, v53
	v_mov_b32_e32 v88, v7
	v_fmac_f32_e32 v88, 0xbf737871, v49
	v_fmac_f32_e32 v7, 0x3f737871, v49
	v_fmac_f32_e32 v88, 0x3f167918, v47
	v_fmac_f32_e32 v7, 0xbf167918, v47
	s_waitcnt lgkmcnt(0)
	v_add_f32_e32 v47, v2, v29
	v_add_f32_e32 v47, v47, v30
	;; [unrolled: 1-line block ×6, first 2 shown]
	v_sub_f32_e32 v53, v116, v114
	v_sub_f32_e32 v57, v118, v120
	v_fma_f32 v99, -0.5, v47, v2
	v_add_f32_e32 v53, v53, v57
	v_sub_f32_e32 v47, v25, v28
	v_mov_b32_e32 v101, v99
	v_fmac_f32_e32 v88, 0x3e9e377a, v53
	v_fmac_f32_e32 v7, 0x3e9e377a, v53
	;; [unrolled: 1-line block ×3, first 2 shown]
	v_sub_f32_e32 v49, v26, v27
	v_sub_f32_e32 v53, v29, v30
	;; [unrolled: 1-line block ×3, first 2 shown]
	v_fmac_f32_e32 v99, 0x3f737871, v47
	v_fmac_f32_e32 v101, 0xbf167918, v49
	v_add_f32_e32 v53, v53, v57
	v_fmac_f32_e32 v99, 0x3f167918, v49
	v_fmac_f32_e32 v101, 0x3e9e377a, v53
	;; [unrolled: 1-line block ×3, first 2 shown]
	v_add_f32_e32 v53, v29, v32
	v_fma_f32 v2, -0.5, v53, v2
	v_mov_b32_e32 v103, v2
	v_fmac_f32_e32 v103, 0x3f737871, v49
	v_fmac_f32_e32 v2, 0xbf737871, v49
	;; [unrolled: 1-line block ×4, first 2 shown]
	v_add_f32_e32 v47, v3, v25
	v_add_f32_e32 v47, v47, v26
	;; [unrolled: 1-line block ×5, first 2 shown]
	v_fma_f32 v100, -0.5, v47, v3
	v_sub_f32_e32 v53, v30, v29
	v_sub_f32_e32 v29, v29, v32
	v_mov_b32_e32 v102, v100
	v_sub_f32_e32 v57, v31, v32
	v_fmac_f32_e32 v102, 0x3f737871, v29
	v_sub_f32_e32 v30, v30, v31
	v_sub_f32_e32 v31, v25, v26
	;; [unrolled: 1-line block ×3, first 2 shown]
	v_fmac_f32_e32 v100, 0xbf737871, v29
	v_fmac_f32_e32 v102, 0x3f167918, v30
	v_add_f32_e32 v31, v31, v32
	v_fmac_f32_e32 v100, 0xbf167918, v30
	v_fmac_f32_e32 v102, 0x3e9e377a, v31
	;; [unrolled: 1-line block ×3, first 2 shown]
	v_add_f32_e32 v31, v25, v28
	v_fmac_f32_e32 v3, -0.5, v31
	v_mov_b32_e32 v104, v3
	v_fmac_f32_e32 v104, 0xbf737871, v30
	v_sub_f32_e32 v25, v26, v25
	v_sub_f32_e32 v26, v27, v28
	v_fmac_f32_e32 v3, 0x3f737871, v30
	v_add_f32_e32 v53, v53, v57
	v_fmac_f32_e32 v104, 0x3f167918, v29
	v_add_f32_e32 v25, v25, v26
	v_fmac_f32_e32 v3, 0xbf167918, v29
	v_fmac_f32_e32 v103, 0x3e9e377a, v53
	;; [unrolled: 1-line block ×5, first 2 shown]
	s_waitcnt lgkmcnt(0)
	; wave barrier
	ds_write_b64 v89, v[14:15]
	ds_write_b64 v89, v[16:17] offset:3136
	ds_write_b64 v89, v[20:21] offset:6272
	ds_write_b64 v89, v[18:19] offset:9408
	ds_write_b64 v89, v[12:13] offset:12544
	ds_write_b64 v93, v[33:34]
	ds_write_b64 v93, v[35:36] offset:3136
	ds_write_b64 v93, v[37:38] offset:6272
	ds_write_b64 v93, v[10:11] offset:9408
	ds_write_b64 v93, v[22:23] offset:12544
	;; [unrolled: 5-line block ×7, first 2 shown]
	s_waitcnt lgkmcnt(0)
	; wave barrier
	s_waitcnt lgkmcnt(0)
	ds_read_b64 v[4:5], v89
	v_lshlrev_b32_e32 v0, 3, v48
	v_sub_u32_e32 v6, 0, v0
	v_cmp_ne_u32_e64 s[2:3], 0, v48
                                        ; implicit-def: $vgpr3
                                        ; implicit-def: $vgpr7
                                        ; implicit-def: $vgpr0_vgpr1
	s_and_saveexec_b64 s[4:5], s[2:3]
	s_xor_b64 s[4:5], exec, s[4:5]
	s_cbranch_execz .LBB0_21
; %bb.20:
	v_mov_b32_e32 v49, 0
	v_lshlrev_b64 v[0:1], 3, v[48:49]
	v_mov_b32_e32 v2, s7
	v_add_co_u32_e64 v0, s[2:3], s6, v0
	v_addc_co_u32_e64 v1, s[2:3], v2, v1, s[2:3]
	global_load_dwordx2 v[0:1], v[0:1], off
	ds_read_b64 v[2:3], v6 offset:15680
	s_waitcnt lgkmcnt(0)
	v_add_f32_e32 v8, v2, v4
	v_sub_f32_e32 v2, v4, v2
	v_add_f32_e32 v7, v3, v5
	v_sub_f32_e32 v3, v5, v3
	v_mul_f32_e32 v2, 0.5, v2
	v_mul_f32_e32 v4, 0.5, v7
	;; [unrolled: 1-line block ×3, first 2 shown]
	s_waitcnt vmcnt(0)
	v_mul_f32_e32 v5, v1, v2
	v_fma_f32 v7, v4, v1, v3
	v_fma_f32 v1, v4, v1, -v3
	v_fma_f32 v9, 0.5, v8, v5
	v_fma_f32 v5, v8, 0.5, -v5
	v_fma_f32 v7, -v0, v2, v7
	v_fma_f32 v3, -v0, v2, v1
	v_fmac_f32_e32 v9, v0, v4
	v_fma_f32 v2, -v0, v4, v5
	v_mov_b32_e32 v0, v48
	ds_write_b32 v89, v9
	v_mov_b32_e32 v1, v49
                                        ; implicit-def: $vgpr4_vgpr5
.LBB0_21:
	s_andn2_saveexec_b64 s[2:3], s[4:5]
	s_cbranch_execz .LBB0_23
; %bb.22:
	v_mov_b32_e32 v7, 0
	ds_read_b32 v3, v7 offset:7844
	v_mov_b32_e32 v0, 0
	s_waitcnt lgkmcnt(1)
	v_add_f32_e32 v8, v4, v5
	v_sub_f32_e32 v2, v4, v5
	v_mov_b32_e32 v1, 0
	s_waitcnt lgkmcnt(0)
	v_xor_b32_e32 v3, 0x80000000, v3
	ds_write_b32 v7, v3 offset:7844
	v_mov_b32_e32 v3, v7
	ds_write_b32 v89, v8
.LBB0_23:
	s_or_b64 exec, exec, s[2:3]
	v_mov_b32_e32 v53, 0
	s_waitcnt lgkmcnt(0)
	v_lshlrev_b64 v[4:5], 3, v[52:53]
	v_mov_b32_e32 v8, s7
	v_add_co_u32_e64 v4, s[2:3], s6, v4
	v_addc_co_u32_e64 v5, s[2:3], v8, v5, s[2:3]
	global_load_dwordx2 v[4:5], v[4:5], off
	v_mov_b32_e32 v63, v53
	v_lshlrev_b64 v[8:9], 3, v[62:63]
	v_mov_b32_e32 v10, s7
	v_add_co_u32_e64 v8, s[2:3], s6, v8
	v_addc_co_u32_e64 v9, s[2:3], v10, v9, s[2:3]
	global_load_dwordx2 v[8:9], v[8:9], off
	v_mov_b32_e32 v62, v53
	;; [unrolled: 6-line block ×3, first 2 shown]
	v_lshlrev_b64 v[14:15], 3, v[56:57]
	ds_write_b32 v89, v7 offset:4
	ds_write_b64 v6, v[2:3] offset:15680
	v_mov_b32_e32 v7, s7
	v_add_co_u32_e64 v14, s[2:3], s6, v14
	v_addc_co_u32_e64 v15, s[2:3], v7, v15, s[2:3]
	ds_read_b64 v[2:3], v93
	ds_read_b64 v[12:13], v6 offset:15232
	global_load_dwordx2 v[14:15], v[14:15], off
	v_mov_b32_e32 v59, v53
	v_lshlrev_b64 v[16:17], 3, v[58:59]
	v_mov_b32_e32 v20, s7
	s_waitcnt lgkmcnt(0)
	v_add_f32_e32 v7, v2, v12
	v_sub_f32_e32 v2, v2, v12
	v_add_f32_e32 v22, v3, v13
	v_sub_f32_e32 v3, v3, v13
	v_mul_f32_e32 v13, 0.5, v2
	v_mul_f32_e32 v12, 0.5, v22
	;; [unrolled: 1-line block ×3, first 2 shown]
	v_mov_b32_e32 v61, v53
	v_lshlrev_b64 v[18:19], 3, v[60:61]
	v_mov_b32_e32 v21, s7
	v_mov_b32_e32 v56, v53
	v_lshlrev_b64 v[0:1], 3, v[0:1]
	v_mov_b32_e32 v65, v53
	s_waitcnt vmcnt(3)
	v_mul_f32_e32 v22, v5, v13
	v_fma_f32 v3, v12, v5, v2
	v_fma_f32 v5, v12, v5, -v2
	v_fma_f32 v2, 0.5, v7, v22
	v_fma_f32 v3, -v4, v13, v3
	v_fma_f32 v7, v7, 0.5, -v22
	v_fmac_f32_e32 v2, v4, v12
	v_fma_f32 v5, -v4, v13, v5
	v_fma_f32 v4, -v4, v12, v7
	ds_write_b64 v93, v[2:3]
	ds_write_b64 v6, v[4:5] offset:15232
	ds_read_b64 v[2:3], v92
	ds_read_b64 v[4:5], v6 offset:14784
	v_add_co_u32_e64 v12, s[2:3], s6, v16
	v_addc_co_u32_e64 v13, s[2:3], v20, v17, s[2:3]
	s_waitcnt lgkmcnt(0)
	v_add_f32_e32 v7, v2, v4
	v_sub_f32_e32 v2, v2, v4
	global_load_dwordx2 v[12:13], v[12:13], off
	v_add_f32_e32 v16, v3, v5
	v_sub_f32_e32 v3, v3, v5
	v_mul_f32_e32 v5, 0.5, v2
	v_mul_f32_e32 v4, 0.5, v16
	;; [unrolled: 1-line block ×3, first 2 shown]
	s_waitcnt vmcnt(3)
	v_mul_f32_e32 v16, v9, v5
	v_fma_f32 v3, v4, v9, v2
	v_fma_f32 v9, v4, v9, -v2
	v_fma_f32 v2, 0.5, v7, v16
	v_fma_f32 v3, -v8, v5, v3
	v_fma_f32 v7, v7, 0.5, -v16
	v_fmac_f32_e32 v2, v8, v4
	v_fma_f32 v5, -v8, v5, v9
	v_fma_f32 v4, -v8, v4, v7
	ds_write_b64 v92, v[2:3]
	ds_write_b64 v6, v[4:5] offset:14784
	ds_read_b64 v[2:3], v91
	ds_read_b64 v[4:5], v6 offset:14336
	v_add_co_u32_e64 v7, s[2:3], s6, v18
	v_addc_co_u32_e64 v8, s[2:3], v21, v19, s[2:3]
	s_waitcnt lgkmcnt(0)
	v_add_f32_e32 v9, v2, v4
	v_sub_f32_e32 v2, v2, v4
	v_add_f32_e32 v16, v3, v5
	v_sub_f32_e32 v3, v3, v5
	v_mul_f32_e32 v5, 0.5, v2
	v_mul_f32_e32 v4, 0.5, v16
	;; [unrolled: 1-line block ×3, first 2 shown]
	s_waitcnt vmcnt(2)
	v_mul_f32_e32 v16, v11, v5
	global_load_dwordx2 v[7:8], v[7:8], off
	v_fma_f32 v3, v4, v11, v2
	v_fma_f32 v11, v4, v11, -v2
	v_fma_f32 v2, 0.5, v9, v16
	v_fma_f32 v3, -v10, v5, v3
	v_fma_f32 v9, v9, 0.5, -v16
	v_fmac_f32_e32 v2, v10, v4
	v_fma_f32 v5, -v10, v5, v11
	v_fma_f32 v4, -v10, v4, v9
	ds_write_b64 v91, v[2:3]
	ds_write_b64 v6, v[4:5] offset:14336
	ds_read_b64 v[2:3], v90
	ds_read_b64 v[4:5], v6 offset:13888
	s_waitcnt lgkmcnt(0)
	v_add_f32_e32 v9, v2, v4
	v_sub_f32_e32 v2, v2, v4
	v_add_f32_e32 v10, v3, v5
	v_sub_f32_e32 v3, v3, v5
	v_mul_f32_e32 v5, 0.5, v2
	v_mul_f32_e32 v4, 0.5, v10
	;; [unrolled: 1-line block ×3, first 2 shown]
	s_waitcnt vmcnt(2)
	v_mul_f32_e32 v11, v15, v5
	v_fma_f32 v2, 0.5, v9, v11
	v_fma_f32 v3, v4, v15, v10
	v_fmac_f32_e32 v2, v14, v4
	v_fma_f32 v3, -v14, v5, v3
	ds_write_b64 v90, v[2:3]
	v_fma_f32 v2, v9, 0.5, -v11
	v_fma_f32 v3, v4, v15, -v10
	v_lshlrev_b64 v[9:10], 3, v[55:56]
	v_fma_f32 v2, -v14, v4, v2
	v_fma_f32 v3, -v14, v5, v3
	v_mov_b32_e32 v11, s7
	v_add_co_u32_e64 v9, s[2:3], s6, v9
	ds_write_b64 v6, v[2:3] offset:13888
	v_addc_co_u32_e64 v10, s[2:3], v11, v10, s[2:3]
	ds_read_b64 v[2:3], v24
	ds_read_b64 v[4:5], v6 offset:13440
	global_load_dwordx2 v[9:10], v[9:10], off
	v_mov_b32_e32 v55, v53
	s_waitcnt lgkmcnt(0)
	v_add_f32_e32 v11, v2, v4
	v_add_f32_e32 v14, v3, v5
	v_sub_f32_e32 v2, v2, v4
	v_sub_f32_e32 v3, v3, v5
	v_mul_f32_e32 v15, 0.5, v2
	v_mul_f32_e32 v16, 0.5, v3
	v_lshlrev_b64 v[2:3], 3, v[54:55]
	v_mov_b32_e32 v4, s7
	v_add_co_u32_e64 v2, s[2:3], s6, v2
	v_addc_co_u32_e64 v3, s[2:3], v4, v3, s[2:3]
	global_load_dwordx2 v[4:5], v[2:3], off
	v_mul_f32_e32 v14, 0.5, v14
	s_waitcnt vmcnt(3)
	v_mul_f32_e32 v17, v13, v15
	v_fma_f32 v2, 0.5, v11, v17
	v_fma_f32 v3, v14, v13, v16
	v_fmac_f32_e32 v2, v12, v14
	v_fma_f32 v3, -v12, v15, v3
	ds_write_b64 v24, v[2:3]
	v_fma_f32 v2, v11, 0.5, -v17
	v_fma_f32 v3, v14, v13, -v16
	v_fma_f32 v2, -v12, v14, v2
	v_fma_f32 v3, -v12, v15, v3
	ds_write_b64 v6, v[2:3] offset:13440
	ds_read_b64 v[2:3], v96
	ds_read_b64 v[11:12], v6 offset:12992
	s_waitcnt lgkmcnt(0)
	v_add_f32_e32 v15, v2, v11
	v_add_f32_e32 v13, v3, v12
	v_sub_f32_e32 v2, v2, v11
	v_sub_f32_e32 v3, v3, v12
	v_mul_f32_e32 v17, 0.5, v2
	v_mul_f32_e32 v18, 0.5, v3
	v_mov_b32_e32 v3, s7
	v_add_co_u32_e64 v2, s[2:3], s6, v0
	v_mul_f32_e32 v16, 0.5, v13
	s_waitcnt vmcnt(2)
	v_mul_f32_e32 v19, v8, v17
	v_addc_co_u32_e64 v3, s[2:3], v3, v1, s[2:3]
	global_load_dwordx2 v[11:12], v[2:3], off offset:4032
	v_fma_f32 v13, 0.5, v15, v19
	v_fma_f32 v14, v16, v8, v18
	v_fmac_f32_e32 v13, v7, v16
	v_fma_f32 v14, -v7, v17, v14
	ds_write_b64 v96, v[13:14]
	v_fma_f32 v13, v15, 0.5, -v19
	v_fma_f32 v8, v16, v8, -v18
	v_fma_f32 v13, -v7, v16, v13
	v_fma_f32 v14, -v7, v17, v8
	ds_write_b64 v6, v[13:14] offset:12992
	ds_read_b64 v[7:8], v95
	ds_read_b64 v[13:14], v6 offset:12544
	s_movk_i32 s2, 0x1000
	s_waitcnt lgkmcnt(0)
	v_add_f32_e32 v15, v8, v14
	v_mul_f32_e32 v20, 0.5, v15
	v_add_co_u32_e64 v15, s[2:3], s2, v2
	v_addc_co_u32_e64 v16, s[2:3], 0, v3, s[2:3]
	global_load_dwordx2 v[17:18], v[15:16], off offset:384
	v_add_f32_e32 v19, v7, v13
	v_sub_f32_e32 v7, v7, v13
	v_sub_f32_e32 v8, v8, v14
	v_mul_f32_e32 v13, 0.5, v7
	v_mul_f32_e32 v14, 0.5, v8
	s_waitcnt vmcnt(3)
	v_mul_f32_e32 v21, v10, v13
	v_fma_f32 v7, 0.5, v19, v21
	v_fma_f32 v8, v20, v10, v14
	v_fmac_f32_e32 v7, v9, v20
	v_fma_f32 v8, -v9, v13, v8
	ds_write_b64 v95, v[7:8]
	v_fma_f32 v7, v19, 0.5, -v21
	v_fma_f32 v8, v20, v10, -v14
	v_fma_f32 v7, -v9, v20, v7
	v_fma_f32 v8, -v9, v13, v8
	ds_write_b64 v6, v[7:8] offset:12544
	ds_read_b64 v[7:8], v94
	ds_read_b64 v[9:10], v6 offset:12096
	s_waitcnt lgkmcnt(0)
	v_add_f32_e32 v19, v7, v9
	v_add_f32_e32 v13, v8, v10
	v_sub_f32_e32 v7, v7, v9
	v_mul_f32_e32 v20, 0.5, v13
	global_load_dwordx2 v[13:14], v[15:16], off offset:832
	v_sub_f32_e32 v8, v8, v10
	v_mul_f32_e32 v9, 0.5, v7
	v_mul_f32_e32 v10, 0.5, v8
	s_waitcnt vmcnt(3)
	v_mul_f32_e32 v21, v5, v9
	v_fma_f32 v7, 0.5, v19, v21
	v_fma_f32 v8, v20, v5, v10
	v_fmac_f32_e32 v7, v4, v20
	v_fma_f32 v8, -v4, v9, v8
	ds_write_b64 v94, v[7:8]
	v_fma_f32 v7, v19, 0.5, -v21
	v_fma_f32 v5, v20, v5, -v10
	v_fma_f32 v7, -v4, v20, v7
	v_fma_f32 v8, -v4, v9, v5
	ds_write_b64 v6, v[7:8] offset:12096
	ds_read_b64 v[4:5], v89 offset:4032
	ds_read_b64 v[7:8], v6 offset:11648
	s_waitcnt lgkmcnt(0)
	v_add_f32_e32 v9, v5, v8
	v_mul_f32_e32 v20, 0.5, v9
	global_load_dwordx2 v[9:10], v[15:16], off offset:1280
	v_add_f32_e32 v19, v4, v7
	v_sub_f32_e32 v4, v4, v7
	v_sub_f32_e32 v5, v5, v8
	v_mul_f32_e32 v7, 0.5, v4
	v_mul_f32_e32 v8, 0.5, v5
	s_waitcnt vmcnt(3)
	v_mul_f32_e32 v21, v12, v7
	v_fma_f32 v4, 0.5, v19, v21
	v_fma_f32 v5, v20, v12, v8
	v_fmac_f32_e32 v4, v11, v20
	v_fma_f32 v5, -v11, v7, v5
	ds_write_b64 v89, v[4:5] offset:4032
	v_fma_f32 v4, v19, 0.5, -v21
	v_fma_f32 v5, v20, v12, -v8
	v_fma_f32 v4, -v11, v20, v4
	v_fma_f32 v5, -v11, v7, v5
	ds_write_b64 v6, v[4:5] offset:11648
	ds_read_b64 v[4:5], v89 offset:4480
	ds_read_b64 v[7:8], v6 offset:11200
	s_waitcnt lgkmcnt(0)
	v_add_f32_e32 v11, v4, v7
	v_add_f32_e32 v12, v5, v8
	v_sub_f32_e32 v4, v4, v7
	v_sub_f32_e32 v5, v5, v8
	global_load_dwordx2 v[7:8], v[15:16], off offset:1728
	v_mul_f32_e32 v19, 0.5, v4
	v_mul_f32_e32 v12, 0.5, v12
	;; [unrolled: 1-line block ×3, first 2 shown]
	s_waitcnt vmcnt(3)
	v_mul_f32_e32 v21, v18, v19
	v_fma_f32 v4, 0.5, v11, v21
	v_fma_f32 v5, v12, v18, v20
	v_fmac_f32_e32 v4, v17, v12
	v_fma_f32 v5, -v17, v19, v5
	ds_write_b64 v89, v[4:5] offset:4480
	v_fma_f32 v4, v11, 0.5, -v21
	v_fma_f32 v5, v12, v18, -v20
	v_fma_f32 v4, -v17, v12, v4
	v_fma_f32 v5, -v17, v19, v5
	ds_write_b64 v6, v[4:5] offset:11200
	ds_read_b64 v[4:5], v89 offset:4928
	ds_read_b64 v[11:12], v6 offset:10752
	s_waitcnt lgkmcnt(0)
	v_add_f32_e32 v17, v4, v11
	v_add_f32_e32 v18, v5, v12
	v_sub_f32_e32 v4, v4, v11
	v_sub_f32_e32 v5, v5, v12
	global_load_dwordx2 v[11:12], v[15:16], off offset:2176
	v_mul_f32_e32 v19, 0.5, v4
	v_mul_f32_e32 v18, 0.5, v18
	;; [unrolled: 1-line block ×3, first 2 shown]
	s_waitcnt vmcnt(3)
	v_mul_f32_e32 v21, v14, v19
	v_fma_f32 v4, 0.5, v17, v21
	v_fma_f32 v5, v18, v14, v20
	v_fmac_f32_e32 v4, v13, v18
	v_fma_f32 v5, -v13, v19, v5
	ds_write_b64 v89, v[4:5] offset:4928
	v_fma_f32 v4, v17, 0.5, -v21
	v_fma_f32 v5, v18, v14, -v20
	v_fma_f32 v4, -v13, v18, v4
	v_fma_f32 v5, -v13, v19, v5
	ds_write_b64 v6, v[4:5] offset:10752
	ds_read_b64 v[4:5], v89 offset:5376
	ds_read_b64 v[13:14], v6 offset:10304
	global_load_dwordx2 v[15:16], v[15:16], off offset:2624
	s_waitcnt lgkmcnt(0)
	v_add_f32_e32 v17, v4, v13
	v_sub_f32_e32 v4, v4, v13
	v_add_f32_e32 v18, v5, v14
	v_sub_f32_e32 v5, v5, v14
	v_mul_f32_e32 v13, 0.5, v4
	v_mul_f32_e32 v18, 0.5, v18
	;; [unrolled: 1-line block ×3, first 2 shown]
	s_waitcnt vmcnt(3)
	v_mul_f32_e32 v19, v10, v13
	v_fma_f32 v4, 0.5, v17, v19
	v_fma_f32 v5, v18, v10, v14
	v_fmac_f32_e32 v4, v9, v18
	v_fma_f32 v5, -v9, v13, v5
	ds_write_b64 v89, v[4:5] offset:5376
	v_fma_f32 v4, v17, 0.5, -v19
	v_fma_f32 v5, v18, v10, -v14
	v_fma_f32 v4, -v9, v18, v4
	v_fma_f32 v5, -v9, v13, v5
	ds_write_b64 v6, v[4:5] offset:10304
	v_lshlrev_b64 v[4:5], 3, v[64:65]
	v_mov_b32_e32 v18, s7
	v_add_co_u32_e64 v17, s[2:3], s6, v4
	v_addc_co_u32_e64 v18, s[2:3], v18, v5, s[2:3]
	ds_read_b64 v[9:10], v89 offset:5824
	ds_read_b64 v[13:14], v6 offset:9856
	global_load_dwordx2 v[17:18], v[17:18], off
	s_waitcnt lgkmcnt(0)
	v_add_f32_e32 v19, v9, v13
	v_sub_f32_e32 v9, v9, v13
	v_add_f32_e32 v20, v10, v14
	v_sub_f32_e32 v10, v10, v14
	v_mul_f32_e32 v13, 0.5, v9
	v_mul_f32_e32 v20, 0.5, v20
	v_mul_f32_e32 v14, 0.5, v10
	s_waitcnt vmcnt(3)
	v_mul_f32_e32 v21, v8, v13
	v_fma_f32 v9, 0.5, v19, v21
	v_fma_f32 v10, v20, v8, v14
	v_fmac_f32_e32 v9, v7, v20
	v_fma_f32 v10, -v7, v13, v10
	ds_write_b64 v89, v[9:10] offset:5824
	v_fma_f32 v9, v19, 0.5, -v21
	v_fma_f32 v8, v20, v8, -v14
	v_fma_f32 v9, -v7, v20, v9
	v_fma_f32 v10, -v7, v13, v8
	ds_write_b64 v6, v[9:10] offset:9856
	ds_read_b64 v[7:8], v89 offset:6272
	ds_read_b64 v[9:10], v6 offset:9408
	s_waitcnt lgkmcnt(0)
	v_add_f32_e32 v13, v7, v9
	v_sub_f32_e32 v7, v7, v9
	v_add_f32_e32 v14, v8, v10
	v_sub_f32_e32 v8, v8, v10
	v_mul_f32_e32 v9, 0.5, v7
	v_mul_f32_e32 v14, 0.5, v14
	v_mul_f32_e32 v10, 0.5, v8
	s_waitcnt vmcnt(2)
	v_mul_f32_e32 v19, v12, v9
	v_fma_f32 v7, 0.5, v13, v19
	v_fma_f32 v8, v14, v12, v10
	v_fmac_f32_e32 v7, v11, v14
	v_fma_f32 v8, -v11, v9, v8
	ds_write_b64 v89, v[7:8] offset:6272
	v_fma_f32 v7, v13, 0.5, -v19
	v_fma_f32 v8, v14, v12, -v10
	v_fma_f32 v7, -v11, v14, v7
	v_fma_f32 v8, -v11, v9, v8
	ds_write_b64 v6, v[7:8] offset:9408
	ds_read_b64 v[7:8], v89 offset:6720
	ds_read_b64 v[9:10], v6 offset:8960
	;; [unrolled: 22-line block ×3, first 2 shown]
	s_waitcnt lgkmcnt(0)
	v_add_f32_e32 v11, v7, v9
	v_sub_f32_e32 v7, v7, v9
	v_add_f32_e32 v12, v8, v10
	v_sub_f32_e32 v8, v8, v10
	v_mul_f32_e32 v9, 0.5, v7
	v_mul_f32_e32 v12, 0.5, v12
	;; [unrolled: 1-line block ×3, first 2 shown]
	s_waitcnt vmcnt(0)
	v_mul_f32_e32 v13, v18, v9
	v_fma_f32 v7, 0.5, v11, v13
	v_fma_f32 v8, v12, v18, v10
	v_fmac_f32_e32 v7, v17, v12
	v_fma_f32 v8, -v17, v9, v8
	ds_write_b64 v89, v[7:8] offset:7168
	v_fma_f32 v7, v11, 0.5, -v13
	v_fma_f32 v8, v12, v18, -v10
	v_fma_f32 v7, -v17, v12, v7
	v_fma_f32 v8, -v17, v9, v8
	ds_write_b64 v6, v[7:8] offset:8512
	s_and_saveexec_b64 s[2:3], vcc
	s_cbranch_execz .LBB0_25
; %bb.24:
	v_add_co_u32_e32 v2, vcc, 0x1000, v2
	v_addc_co_u32_e32 v3, vcc, 0, v3, vcc
	global_load_dwordx2 v[2:3], v[2:3], off offset:3520
	ds_read_b64 v[7:8], v89 offset:7616
	ds_read_b64 v[9:10], v6 offset:8064
	s_waitcnt lgkmcnt(0)
	v_add_f32_e32 v11, v7, v9
	v_sub_f32_e32 v7, v7, v9
	v_add_f32_e32 v12, v8, v10
	v_sub_f32_e32 v8, v8, v10
	v_mul_f32_e32 v10, 0.5, v7
	v_mul_f32_e32 v9, 0.5, v12
	;; [unrolled: 1-line block ×3, first 2 shown]
	s_waitcnt vmcnt(0)
	v_mul_f32_e32 v12, v3, v10
	v_fma_f32 v8, v9, v3, v7
	v_fma_f32 v3, v9, v3, -v7
	v_fma_f32 v7, 0.5, v11, v12
	v_fma_f32 v8, -v2, v10, v8
	v_fma_f32 v11, v11, 0.5, -v12
	v_fmac_f32_e32 v7, v2, v9
	v_fma_f32 v3, -v2, v10, v3
	v_fma_f32 v2, -v2, v9, v11
	ds_write_b64 v89, v[7:8] offset:7616
	ds_write_b64 v6, v[2:3] offset:8064
.LBB0_25:
	s_or_b64 exec, exec, s[2:3]
	s_waitcnt lgkmcnt(0)
	; wave barrier
	s_waitcnt lgkmcnt(0)
	s_and_saveexec_b64 s[2:3], s[0:1]
	s_cbranch_execz .LBB0_28
; %bb.26:
	ds_read2_b64 v[6:9], v89 offset1:56
	v_mov_b32_e32 v2, s13
	v_add_co_u32_e32 v3, vcc, s12, v50
	v_addc_co_u32_e32 v2, vcc, v2, v51, vcc
	ds_read2_b64 v[10:13], v89 offset0:112 offset1:168
	v_add_co_u32_e32 v18, vcc, v3, v0
	v_addc_co_u32_e32 v19, vcc, v2, v1, vcc
	s_waitcnt lgkmcnt(1)
	global_store_dwordx2 v[18:19], v[6:7], off
	global_store_dwordx2 v[18:19], v[8:9], off offset:448
	s_waitcnt lgkmcnt(0)
	global_store_dwordx2 v[18:19], v[10:11], off offset:896
	v_add_u32_e32 v0, 0x400, v89
	ds_read2_b64 v[6:9], v0 offset0:96 offset1:152
	v_add_u32_e32 v0, 0x800, v89
	ds_read2_b64 v[14:17], v0 offset0:80 offset1:136
	global_store_dwordx2 v[18:19], v[12:13], off offset:1344
	ds_read2_b64 v[10:13], v0 offset0:192 offset1:248
	s_waitcnt lgkmcnt(2)
	global_store_dwordx2 v[18:19], v[6:7], off offset:1792
	global_store_dwordx2 v[18:19], v[8:9], off offset:2240
	s_waitcnt lgkmcnt(1)
	global_store_dwordx2 v[18:19], v[14:15], off offset:2688
	global_store_dwordx2 v[18:19], v[16:17], off offset:3136
	;; [unrolled: 3-line block ×3, first 2 shown]
	v_add_u32_e32 v10, 0x1000, v89
	ds_read2_b64 v[6:9], v10 offset0:48 offset1:104
	s_movk_i32 s0, 0x1000
	ds_read2_b64 v[10:13], v10 offset0:160 offset1:216
	v_add_co_u32_e32 v0, vcc, s0, v18
	v_add_u32_e32 v20, 0x1800, v89
	v_addc_co_u32_e32 v1, vcc, 0, v19, vcc
	ds_read2_b64 v[14:17], v20 offset0:16 offset1:72
	s_waitcnt lgkmcnt(2)
	global_store_dwordx2 v[0:1], v[6:7], off offset:384
	global_store_dwordx2 v[0:1], v[8:9], off offset:832
	s_waitcnt lgkmcnt(1)
	global_store_dwordx2 v[0:1], v[10:11], off offset:1280
	global_store_dwordx2 v[0:1], v[12:13], off offset:1728
	;; [unrolled: 3-line block ×3, first 2 shown]
	ds_read2_b64 v[6:9], v20 offset0:128 offset1:184
	v_add_u32_e32 v10, 0x1c00, v89
	ds_read2_b64 v[10:13], v10 offset0:112 offset1:168
	v_add_co_u32_e32 v4, vcc, v3, v4
	v_addc_co_u32_e32 v5, vcc, v2, v5, vcc
	s_waitcnt lgkmcnt(1)
	global_store_dwordx2 v[4:5], v[6:7], off
	global_store_dwordx2 v[0:1], v[8:9], off offset:3520
	s_waitcnt lgkmcnt(0)
	global_store_dwordx2 v[0:1], v[10:11], off offset:3968
	v_add_u32_e32 v0, 0x2000, v89
	ds_read2_b64 v[4:7], v0 offset0:96 offset1:152
	s_movk_i32 s0, 0x2000
	v_add_u32_e32 v0, 0x2400, v89
	ds_read2_b64 v[8:11], v0 offset0:80 offset1:136
	v_add_co_u32_e32 v14, vcc, s0, v18
	v_addc_co_u32_e32 v15, vcc, 0, v19, vcc
	global_store_dwordx2 v[14:15], v[12:13], off offset:320
	s_waitcnt lgkmcnt(1)
	global_store_dwordx2 v[14:15], v[4:5], off offset:768
	global_store_dwordx2 v[14:15], v[6:7], off offset:1216
	s_waitcnt lgkmcnt(0)
	global_store_dwordx2 v[14:15], v[8:9], off offset:1664
	global_store_dwordx2 v[14:15], v[10:11], off offset:2112
	v_add_u32_e32 v8, 0x2800, v89
	v_or_b32_e32 v0, 0x540, v48
	v_mov_b32_e32 v1, 0
	ds_read2_b64 v[4:7], v8 offset0:64 offset1:120
	v_lshlrev_b64 v[12:13], 3, v[0:1]
	ds_read2_b64 v[8:11], v8 offset0:176 offset1:232
	v_add_co_u32_e32 v12, vcc, v3, v12
	v_addc_co_u32_e32 v13, vcc, v2, v13, vcc
	s_waitcnt lgkmcnt(1)
	global_store_dwordx2 v[12:13], v[4:5], off
	global_store_dwordx2 v[14:15], v[6:7], off offset:3008
	s_waitcnt lgkmcnt(0)
	global_store_dwordx2 v[14:15], v[8:9], off offset:3456
	global_store_dwordx2 v[14:15], v[10:11], off offset:3904
	v_add_u32_e32 v0, 0x3000, v89
	ds_read2_b64 v[4:7], v0 offset0:32 offset1:88
	ds_read2_b64 v[8:11], v0 offset0:144 offset1:200
	s_movk_i32 s0, 0x3000
	v_add_co_u32_e32 v12, vcc, s0, v18
	v_addc_co_u32_e32 v13, vcc, 0, v19, vcc
	s_waitcnt lgkmcnt(1)
	global_store_dwordx2 v[12:13], v[4:5], off offset:256
	global_store_dwordx2 v[12:13], v[6:7], off offset:704
	s_waitcnt lgkmcnt(0)
	global_store_dwordx2 v[12:13], v[8:9], off offset:1152
	global_store_dwordx2 v[12:13], v[10:11], off offset:1600
	v_or_b32_e32 v0, 0x700, v48
	v_add_u32_e32 v4, 0x3800, v89
	ds_read2_b64 v[4:7], v4 offset1:56
	v_lshlrev_b64 v[8:9], 3, v[0:1]
	ds_read_b64 v[10:11], v89 offset:15232
	v_add_co_u32_e32 v8, vcc, v3, v8
	v_addc_co_u32_e32 v9, vcc, v2, v9, vcc
	v_cmp_eq_u32_e32 vcc, 55, v48
	s_waitcnt lgkmcnt(1)
	global_store_dwordx2 v[8:9], v[4:5], off
	global_store_dwordx2 v[12:13], v[6:7], off offset:2496
	s_waitcnt lgkmcnt(0)
	global_store_dwordx2 v[12:13], v[10:11], off offset:2944
	s_and_b64 exec, exec, vcc
	s_cbranch_execz .LBB0_28
; %bb.27:
	ds_read_b64 v[0:1], v1 offset:15680
	v_add_co_u32_e32 v3, vcc, 0x3000, v3
	v_addc_co_u32_e32 v4, vcc, 0, v2, vcc
	s_waitcnt lgkmcnt(0)
	global_store_dwordx2 v[3:4], v[0:1], off offset:3392
.LBB0_28:
	s_endpgm
	.section	.rodata,"a",@progbits
	.p2align	6, 0x0
	.amdhsa_kernel fft_rtc_back_len1960_factors_4_7_2_7_5_wgs_56_tpt_56_halfLds_sp_ip_CI_unitstride_sbrr_R2C_dirReg
		.amdhsa_group_segment_fixed_size 0
		.amdhsa_private_segment_fixed_size 0
		.amdhsa_kernarg_size 88
		.amdhsa_user_sgpr_count 6
		.amdhsa_user_sgpr_private_segment_buffer 1
		.amdhsa_user_sgpr_dispatch_ptr 0
		.amdhsa_user_sgpr_queue_ptr 0
		.amdhsa_user_sgpr_kernarg_segment_ptr 1
		.amdhsa_user_sgpr_dispatch_id 0
		.amdhsa_user_sgpr_flat_scratch_init 0
		.amdhsa_user_sgpr_private_segment_size 0
		.amdhsa_uses_dynamic_stack 0
		.amdhsa_system_sgpr_private_segment_wavefront_offset 0
		.amdhsa_system_sgpr_workgroup_id_x 1
		.amdhsa_system_sgpr_workgroup_id_y 0
		.amdhsa_system_sgpr_workgroup_id_z 0
		.amdhsa_system_sgpr_workgroup_info 0
		.amdhsa_system_vgpr_workitem_id 0
		.amdhsa_next_free_vgpr 164
		.amdhsa_next_free_sgpr 22
		.amdhsa_reserve_vcc 1
		.amdhsa_reserve_flat_scratch 0
		.amdhsa_float_round_mode_32 0
		.amdhsa_float_round_mode_16_64 0
		.amdhsa_float_denorm_mode_32 3
		.amdhsa_float_denorm_mode_16_64 3
		.amdhsa_dx10_clamp 1
		.amdhsa_ieee_mode 1
		.amdhsa_fp16_overflow 0
		.amdhsa_exception_fp_ieee_invalid_op 0
		.amdhsa_exception_fp_denorm_src 0
		.amdhsa_exception_fp_ieee_div_zero 0
		.amdhsa_exception_fp_ieee_overflow 0
		.amdhsa_exception_fp_ieee_underflow 0
		.amdhsa_exception_fp_ieee_inexact 0
		.amdhsa_exception_int_div_zero 0
	.end_amdhsa_kernel
	.text
.Lfunc_end0:
	.size	fft_rtc_back_len1960_factors_4_7_2_7_5_wgs_56_tpt_56_halfLds_sp_ip_CI_unitstride_sbrr_R2C_dirReg, .Lfunc_end0-fft_rtc_back_len1960_factors_4_7_2_7_5_wgs_56_tpt_56_halfLds_sp_ip_CI_unitstride_sbrr_R2C_dirReg
                                        ; -- End function
	.section	.AMDGPU.csdata,"",@progbits
; Kernel info:
; codeLenInByte = 20384
; NumSgprs: 26
; NumVgprs: 164
; ScratchSize: 0
; MemoryBound: 0
; FloatMode: 240
; IeeeMode: 1
; LDSByteSize: 0 bytes/workgroup (compile time only)
; SGPRBlocks: 3
; VGPRBlocks: 40
; NumSGPRsForWavesPerEU: 26
; NumVGPRsForWavesPerEU: 164
; Occupancy: 1
; WaveLimiterHint : 1
; COMPUTE_PGM_RSRC2:SCRATCH_EN: 0
; COMPUTE_PGM_RSRC2:USER_SGPR: 6
; COMPUTE_PGM_RSRC2:TRAP_HANDLER: 0
; COMPUTE_PGM_RSRC2:TGID_X_EN: 1
; COMPUTE_PGM_RSRC2:TGID_Y_EN: 0
; COMPUTE_PGM_RSRC2:TGID_Z_EN: 0
; COMPUTE_PGM_RSRC2:TIDIG_COMP_CNT: 0
	.type	__hip_cuid_1ae42f8851b9cccc,@object ; @__hip_cuid_1ae42f8851b9cccc
	.section	.bss,"aw",@nobits
	.globl	__hip_cuid_1ae42f8851b9cccc
__hip_cuid_1ae42f8851b9cccc:
	.byte	0                               ; 0x0
	.size	__hip_cuid_1ae42f8851b9cccc, 1

	.ident	"AMD clang version 19.0.0git (https://github.com/RadeonOpenCompute/llvm-project roc-6.4.0 25133 c7fe45cf4b819c5991fe208aaa96edf142730f1d)"
	.section	".note.GNU-stack","",@progbits
	.addrsig
	.addrsig_sym __hip_cuid_1ae42f8851b9cccc
	.amdgpu_metadata
---
amdhsa.kernels:
  - .args:
      - .actual_access:  read_only
        .address_space:  global
        .offset:         0
        .size:           8
        .value_kind:     global_buffer
      - .offset:         8
        .size:           8
        .value_kind:     by_value
      - .actual_access:  read_only
        .address_space:  global
        .offset:         16
        .size:           8
        .value_kind:     global_buffer
      - .actual_access:  read_only
        .address_space:  global
        .offset:         24
        .size:           8
        .value_kind:     global_buffer
      - .offset:         32
        .size:           8
        .value_kind:     by_value
      - .actual_access:  read_only
        .address_space:  global
        .offset:         40
        .size:           8
        .value_kind:     global_buffer
      - .actual_access:  read_only
        .address_space:  global
        .offset:         48
        .size:           8
        .value_kind:     global_buffer
      - .offset:         56
        .size:           4
        .value_kind:     by_value
      - .actual_access:  read_only
        .address_space:  global
        .offset:         64
        .size:           8
        .value_kind:     global_buffer
      - .actual_access:  read_only
        .address_space:  global
        .offset:         72
        .size:           8
        .value_kind:     global_buffer
      - .address_space:  global
        .offset:         80
        .size:           8
        .value_kind:     global_buffer
    .group_segment_fixed_size: 0
    .kernarg_segment_align: 8
    .kernarg_segment_size: 88
    .language:       OpenCL C
    .language_version:
      - 2
      - 0
    .max_flat_workgroup_size: 56
    .name:           fft_rtc_back_len1960_factors_4_7_2_7_5_wgs_56_tpt_56_halfLds_sp_ip_CI_unitstride_sbrr_R2C_dirReg
    .private_segment_fixed_size: 0
    .sgpr_count:     26
    .sgpr_spill_count: 0
    .symbol:         fft_rtc_back_len1960_factors_4_7_2_7_5_wgs_56_tpt_56_halfLds_sp_ip_CI_unitstride_sbrr_R2C_dirReg.kd
    .uniform_work_group_size: 1
    .uses_dynamic_stack: false
    .vgpr_count:     164
    .vgpr_spill_count: 0
    .wavefront_size: 64
amdhsa.target:   amdgcn-amd-amdhsa--gfx906
amdhsa.version:
  - 1
  - 2
...

	.end_amdgpu_metadata
